;; amdgpu-corpus repo=zjin-lcf/HeCBench kind=compiled arch=gfx906 opt=O3
	.amdgcn_target "amdgcn-amd-amdhsa--gfx906"
	.amdhsa_code_object_version 6
	.text
	.protected	_Z14calculateForcePA400_A400_dS1_S1_S1_dddddd ; -- Begin function _Z14calculateForcePA400_A400_dS1_S1_S1_dddddd
	.globl	_Z14calculateForcePA400_A400_dS1_S1_S1_dddddd
	.p2align	8
	.type	_Z14calculateForcePA400_A400_dS1_S1_S1_dddddd,@function
_Z14calculateForcePA400_A400_dS1_S1_S1_dddddd: ; @_Z14calculateForcePA400_A400_dS1_S1_S1_dddddd
; %bb.0:
	s_load_dwordx2 s[0:1], s[4:5], 0x5c
	s_load_dwordx16 s[12:27], s[4:5], 0x0
	v_mov_b32_e32 v36, 0
	s_waitcnt lgkmcnt(0)
	s_and_b32 s1, s1, 0xffff
	s_lshr_b32 s2, s0, 16
	s_and_b32 s0, s0, 0xffff
	s_mul_i32 s6, s6, s0
	s_mul_i32 s7, s7, s2
	;; [unrolled: 1-line block ×3, first 2 shown]
	v_add_u32_e32 v0, s6, v0
	v_add_u32_e32 v34, s7, v1
	;; [unrolled: 1-line block ×3, first 2 shown]
	v_max3_u32 v1, v0, v34, v35
	s_movk_i32 s0, 0x18e
	v_cmp_lt_u32_e32 vcc, s0, v1
	v_cmp_eq_u32_e64 s[0:1], 0, v35
	v_cmp_eq_u32_e64 s[2:3], 0, v34
	s_or_b64 s[0:1], s[0:1], s[2:3]
	s_or_b64 s[0:1], s[0:1], vcc
	v_cmp_eq_u32_e32 vcc, 0, v0
	s_mov_b32 s6, 0
	s_or_b64 s[0:1], vcc, s[0:1]
	s_and_saveexec_b64 s[2:3], s[0:1]
	s_xor_b64 s[0:1], exec, s[2:3]
	s_cbranch_execz .LBB0_2
; %bb.1:
	v_mov_b32_e32 v1, s14
	s_mov_b32 s7, 0x138800
	v_mov_b32_e32 v2, s15
	v_mad_u64_u32 v[1:2], s[2:3], v35, s7, v[1:2]
	v_mov_b32_e32 v6, s16
	v_mov_b32_e32 v7, s17
	v_mad_u64_u32 v[6:7], s[2:3], v35, s7, v[6:7]
	s_movk_i32 s8, 0xc80
	v_mad_u64_u32 v[2:3], s[2:3], v34, s8, v[1:2]
	v_mov_b32_e32 v1, v36
	v_lshlrev_b64 v[4:5], 3, v[0:1]
	v_mad_u64_u32 v[6:7], s[2:3], v34, s8, v[6:7]
	s_mov_b32 s7, s6
	v_add_co_u32_e32 v2, vcc, v2, v4
	v_mov_b32_e32 v9, s7
	v_addc_co_u32_e32 v3, vcc, v3, v5, vcc
	v_mov_b32_e32 v8, s6
	global_store_dwordx2 v[2:3], v[8:9], off
	v_add_co_u32_e32 v2, vcc, v6, v4
	v_addc_co_u32_e32 v3, vcc, v7, v5, vcc
	global_store_dwordx2 v[2:3], v[8:9], off
.LBB0_2:
	s_or_saveexec_b64 s[10:11], s[0:1]
	v_mov_b32_e32 v2, 0
	v_mov_b32_e32 v3, 0
	s_xor_b64 exec, exec, s[10:11]
	s_cbranch_execz .LBB0_14
; %bb.3:
	v_mov_b32_e32 v1, s12
	v_mov_b32_e32 v2, s13
	s_mov_b32 s0, 0x138800
	v_mad_u64_u32 v[1:2], s[0:1], v35, s0, v[1:2]
	s_movk_i32 s0, 0xc80
	v_mov_b32_e32 v36, 0
	v_mad_u64_u32 v[4:5], s[0:1], v34, s0, v[1:2]
	v_mov_b32_e32 v1, v36
	v_lshlrev_b64 v[2:3], 3, v[0:1]
	s_mov_b32 s0, 0x138000
	v_add_co_u32_e32 v4, vcc, v4, v2
	v_addc_co_u32_e32 v5, vcc, v5, v3, vcc
	v_add_co_u32_e32 v6, vcc, s0, v4
	v_addc_co_u32_e32 v7, vcc, 0, v5, vcc
	s_mov_b32 s0, 0xffec8000
	v_add_co_u32_e32 v8, vcc, s0, v4
	v_addc_co_u32_e32 v9, vcc, -1, v5, vcc
	global_load_dwordx2 v[10:11], v[6:7], off offset:2048
	global_load_dwordx2 v[12:13], v[8:9], off offset:-2048
	global_load_dwordx2 v[14:15], v[4:5], off offset:3200
	global_load_dwordx2 v[16:17], v[4:5], off offset:-3200
	;; [unrolled: 2-line block ×3, first 2 shown]
	v_add_f64 v[4:5], s[20:21], s[20:21]
	v_add_f64 v[8:9], s[22:23], s[22:23]
	;; [unrolled: 1-line block ×3, first 2 shown]
	s_waitcnt vmcnt(4)
	v_add_f64 v[6:7], v[10:11], -v[12:13]
	s_waitcnt vmcnt(2)
	v_add_f64 v[10:11], v[14:15], -v[16:17]
	s_waitcnt vmcnt(0)
	v_add_f64 v[18:19], v[18:19], -v[20:21]
	v_div_scale_f64 v[12:13], s[0:1], v[4:5], v[4:5], v[6:7]
	v_div_scale_f64 v[14:15], s[0:1], v[8:9], v[8:9], v[10:11]
	;; [unrolled: 1-line block ×4, first 2 shown]
	v_rcp_f64_e32 v[20:21], v[12:13]
	v_rcp_f64_e32 v[24:25], v[14:15]
	;; [unrolled: 1-line block ×3, first 2 shown]
	v_fma_f64 v[28:29], -v[12:13], v[20:21], 1.0
	v_fma_f64 v[30:31], -v[14:15], v[24:25], 1.0
	v_fma_f64 v[20:21], v[20:21], v[28:29], v[20:21]
	v_div_scale_f64 v[28:29], vcc, v[6:7], v[4:5], v[6:7]
	v_fma_f64 v[24:25], v[24:25], v[30:31], v[24:25]
	v_fma_f64 v[30:31], -v[16:17], v[26:27], 1.0
	v_fma_f64 v[32:33], -v[12:13], v[20:21], 1.0
	;; [unrolled: 1-line block ×3, first 2 shown]
	v_fma_f64 v[26:27], v[26:27], v[30:31], v[26:27]
	v_div_scale_f64 v[30:31], s[2:3], v[18:19], v[22:23], v[18:19]
	v_fma_f64 v[20:21], v[20:21], v[32:33], v[20:21]
	v_fma_f64 v[24:25], v[24:25], v[39:40], v[24:25]
	v_fma_f64 v[32:33], -v[16:17], v[26:27], 1.0
	v_mul_f64 v[39:40], v[28:29], v[20:21]
	v_mul_f64 v[41:42], v[37:38], v[24:25]
	v_fma_f64 v[26:27], v[26:27], v[32:33], v[26:27]
	v_fma_f64 v[12:13], -v[12:13], v[39:40], v[28:29]
	v_fma_f64 v[14:15], -v[14:15], v[41:42], v[37:38]
	v_mul_f64 v[28:29], v[30:31], v[26:27]
	v_div_fmas_f64 v[12:13], v[12:13], v[20:21], v[39:40]
	s_mov_b64 vcc, s[0:1]
	v_div_fmas_f64 v[14:15], v[14:15], v[24:25], v[41:42]
	v_fma_f64 v[16:17], -v[16:17], v[28:29], v[30:31]
	s_mov_b64 vcc, s[2:3]
                                        ; implicit-def: $vgpr30_vgpr31
	v_div_fmas_f64 v[20:21], v[16:17], v[26:27], v[28:29]
	v_div_fixup_f64 v[16:17], v[12:13], v[4:5], v[6:7]
	v_div_fixup_f64 v[10:11], v[14:15], v[8:9], v[10:11]
	v_cmp_neq_f64_e64 s[2:3], 0, v[16:17]
	v_mul_f64 v[6:7], v[10:11], v[10:11]
	v_div_fixup_f64 v[4:5], v[20:21], v[22:23], v[18:19]
	v_cmp_neq_f64_e64 s[0:1], 0, v[10:11]
	v_fma_f64 v[8:9], v[16:17], v[16:17], v[6:7]
	v_cmp_neq_f64_e64 s[6:7], 0, v[4:5]
	s_or_b64 s[8:9], s[2:3], s[0:1]
	v_fma_f64 v[20:21], v[4:5], v[4:5], v[8:9]
	s_or_b64 s[12:13], s[8:9], s[6:7]
	s_xor_b64 s[8:9], s[12:13], -1
	s_and_saveexec_b64 s[20:21], s[8:9]
	s_xor_b64 s[8:9], exec, s[20:21]
	s_cbranch_execz .LBB0_5
; %bb.4:
	v_mov_b32_e32 v12, 0xaaaaaaab
	v_mov_b32_e32 v13, 0xbffaaaaa
	v_fma_f64 v[30:31], s[26:27], v[12:13], 1.0
.LBB0_5:
	s_or_saveexec_b64 s[20:21], s[8:9]
	v_mul_f64 v[18:19], v[16:17], v[16:17]
	v_mul_f64 v[14:15], v[6:7], v[6:7]
	;; [unrolled: 1-line block ×4, first 2 shown]
	v_fma_f64 v[14:15], v[18:19], v[18:19], v[14:15]
	s_xor_b64 exec, exec, s[20:21]
	s_cbranch_execz .LBB0_7
; %bb.6:
	v_mov_b32_e32 v24, 0
	v_mov_b32_e32 v25, 0xc0080000
	v_mul_f64 v[26:27], s[26:27], 4.0
	v_fma_f64 v[24:25], s[26:27], v[24:25], 1.0
	v_fma_f64 v[28:29], v[12:13], v[12:13], v[14:15]
	v_div_scale_f64 v[30:31], s[8:9], v[24:25], v[24:25], v[26:27]
	v_div_scale_f64 v[32:33], s[8:9], v[22:23], v[22:23], v[28:29]
	;; [unrolled: 1-line block ×3, first 2 shown]
	v_rcp_f64_e32 v[37:38], v[30:31]
	v_rcp_f64_e32 v[39:40], v[32:33]
	v_fma_f64 v[41:42], -v[30:31], v[37:38], 1.0
	v_fma_f64 v[43:44], -v[32:33], v[39:40], 1.0
	v_fma_f64 v[37:38], v[37:38], v[41:42], v[37:38]
	v_div_scale_f64 v[41:42], vcc, v[26:27], v[24:25], v[26:27]
	v_fma_f64 v[39:40], v[39:40], v[43:44], v[39:40]
	v_fma_f64 v[43:44], -v[30:31], v[37:38], 1.0
	v_fma_f64 v[47:48], -v[32:33], v[39:40], 1.0
	v_fma_f64 v[37:38], v[37:38], v[43:44], v[37:38]
	v_fma_f64 v[39:40], v[39:40], v[47:48], v[39:40]
	v_mul_f64 v[43:44], v[41:42], v[37:38]
	v_mul_f64 v[47:48], v[45:46], v[39:40]
	v_fma_f64 v[30:31], -v[30:31], v[43:44], v[41:42]
	v_fma_f64 v[32:33], -v[32:33], v[47:48], v[45:46]
	v_div_fmas_f64 v[30:31], v[30:31], v[37:38], v[43:44]
	s_mov_b64 vcc, s[8:9]
	v_div_fmas_f64 v[32:33], v[32:33], v[39:40], v[47:48]
	v_div_fixup_f64 v[26:27], v[30:31], v[24:25], v[26:27]
	v_div_fixup_f64 v[28:29], v[32:33], v[22:23], v[28:29]
	v_fma_f64 v[26:27], v[26:27], v[28:29], 1.0
	v_mul_f64 v[30:31], v[24:25], v[26:27]
.LBB0_7:
	s_or_b64 exec, exec, s[20:21]
	v_add_f64 v[24:25], v[6:7], v[12:13]
	v_mul_f64 v[28:29], v[12:13], v[12:13]
	v_mov_b32_e32 v26, 0
	v_mov_b32_e32 v32, 0
	;; [unrolled: 1-line block ×4, first 2 shown]
	s_and_saveexec_b64 s[8:9], s[12:13]
	s_cbranch_execz .LBB0_9
; %bb.8:
	v_fma_f64 v[32:33], v[6:7], v[6:7], v[28:29]
	v_mul_f64 v[37:38], v[16:17], v[18:19]
	v_mul_f64 v[32:33], v[16:17], v[32:33]
	v_fma_f64 v[32:33], v[37:38], v[24:25], -v[32:33]
	v_div_scale_f64 v[37:38], s[12:13], v[22:23], v[22:23], v[32:33]
	v_div_scale_f64 v[43:44], vcc, v[32:33], v[22:23], v[32:33]
	v_rcp_f64_e32 v[39:40], v[37:38]
	v_fma_f64 v[41:42], -v[37:38], v[39:40], 1.0
	v_fma_f64 v[39:40], v[39:40], v[41:42], v[39:40]
	v_fma_f64 v[41:42], -v[37:38], v[39:40], 1.0
	v_fma_f64 v[39:40], v[39:40], v[41:42], v[39:40]
	v_mul_f64 v[41:42], v[43:44], v[39:40]
	v_fma_f64 v[37:38], -v[37:38], v[41:42], v[43:44]
	v_div_fmas_f64 v[37:38], v[37:38], v[39:40], v[41:42]
	v_div_fixup_f64 v[32:33], v[37:38], v[22:23], v[32:33]
.LBB0_9:
	s_or_b64 exec, exec, s[8:9]
	s_load_dwordx2 s[4:5], s[4:5], 0x40
	s_mov_b32 s8, 0x138800
	s_movk_i32 s9, 0xc80
	s_waitcnt lgkmcnt(0)
	v_ldexp_f64 v[22:23], s[4:5], 4
	v_mul_f64 v[30:31], s[4:5], v[30:31]
	v_mul_f64 v[22:23], s[26:27], v[22:23]
	;; [unrolled: 1-line block ×6, first 2 shown]
	v_mov_b32_e32 v33, s15
	v_mov_b32_e32 v32, s14
	v_mad_u64_u32 v[32:33], s[4:5], v35, s8, v[32:33]
	v_mad_u64_u32 v[32:33], s[4:5], v34, s9, v[32:33]
	v_fma_f64 v[30:31], v[16:17], v[20:21], v[30:31]
	v_add_f64 v[16:17], v[18:19], v[12:13]
	s_or_b64 s[4:5], s[0:1], s[6:7]
	v_add_co_u32_e32 v32, vcc, v32, v2
	v_addc_co_u32_e32 v33, vcc, v33, v3, vcc
	s_or_b64 s[12:13], s[2:3], s[4:5]
	global_store_dwordx2 v[32:33], v[30:31], off
	s_and_saveexec_b64 s[4:5], s[12:13]
	s_cbranch_execz .LBB0_11
; %bb.10:
	v_fma_f64 v[26:27], v[18:19], v[18:19], v[28:29]
	v_mul_f64 v[28:29], v[10:11], v[6:7]
	v_add_f64 v[18:19], v[18:19], v[24:25]
	v_mul_f64 v[24:25], v[10:11], v[26:27]
	v_mul_f64 v[18:19], v[18:19], v[18:19]
	v_fma_f64 v[24:25], v[28:29], v[16:17], -v[24:25]
	v_div_scale_f64 v[26:27], s[12:13], v[18:19], v[18:19], v[24:25]
	v_div_scale_f64 v[32:33], vcc, v[24:25], v[18:19], v[24:25]
	v_rcp_f64_e32 v[28:29], v[26:27]
	v_fma_f64 v[30:31], -v[26:27], v[28:29], 1.0
	v_fma_f64 v[28:29], v[28:29], v[30:31], v[28:29]
	v_fma_f64 v[30:31], -v[26:27], v[28:29], 1.0
	v_fma_f64 v[28:29], v[28:29], v[30:31], v[28:29]
	v_mul_f64 v[30:31], v[32:33], v[28:29]
	v_fma_f64 v[26:27], -v[26:27], v[30:31], v[32:33]
	v_div_fmas_f64 v[26:27], v[26:27], v[28:29], v[30:31]
	v_div_fixup_f64 v[26:27], v[26:27], v[18:19], v[24:25]
.LBB0_11:
	s_or_b64 exec, exec, s[4:5]
	v_mul_f64 v[18:19], v[22:23], v[26:27]
	v_mov_b32_e32 v25, s17
	v_mov_b32_e32 v24, s16
	v_mad_u64_u32 v[24:25], s[4:5], v35, s8, v[24:25]
	s_or_b64 s[2:3], s[2:3], s[6:7]
	s_or_b64 s[2:3], s[0:1], s[2:3]
	v_mad_u64_u32 v[24:25], s[4:5], v34, s9, v[24:25]
	v_fma_f64 v[18:19], v[10:11], v[20:21], v[18:19]
	v_mov_b32_e32 v10, 0
	v_add_co_u32_e32 v2, vcc, v24, v2
	v_mov_b32_e32 v11, 0
	v_addc_co_u32_e32 v3, vcc, v25, v3, vcc
	global_store_dwordx2 v[2:3], v[18:19], off
	s_and_saveexec_b64 s[0:1], s[2:3]
	s_cbranch_execz .LBB0_13
; %bb.12:
	v_mul_f64 v[2:3], v[4:5], v[12:13]
	v_mul_f64 v[10:11], v[4:5], v[14:15]
	v_add_f64 v[6:7], v[6:7], v[16:17]
	v_fma_f64 v[2:3], v[8:9], v[2:3], -v[10:11]
	v_mul_f64 v[6:7], v[6:7], v[6:7]
	v_div_scale_f64 v[8:9], s[2:3], v[6:7], v[6:7], v[2:3]
	v_div_scale_f64 v[14:15], vcc, v[2:3], v[6:7], v[2:3]
	v_rcp_f64_e32 v[10:11], v[8:9]
	v_fma_f64 v[12:13], -v[8:9], v[10:11], 1.0
	v_fma_f64 v[10:11], v[10:11], v[12:13], v[10:11]
	v_fma_f64 v[12:13], -v[8:9], v[10:11], 1.0
	v_fma_f64 v[10:11], v[10:11], v[12:13], v[10:11]
	v_mul_f64 v[12:13], v[14:15], v[10:11]
	v_fma_f64 v[8:9], -v[8:9], v[12:13], v[14:15]
	v_div_fmas_f64 v[8:9], v[8:9], v[10:11], v[12:13]
	v_div_fixup_f64 v[10:11], v[8:9], v[6:7], v[2:3]
.LBB0_13:
	s_or_b64 exec, exec, s[0:1]
	v_mul_f64 v[2:3], v[22:23], v[10:11]
	v_fma_f64 v[2:3], v[4:5], v[20:21], v[2:3]
.LBB0_14:
	s_or_b64 exec, exec, s[10:11]
	v_mov_b32_e32 v4, s18
	v_mov_b32_e32 v5, s19
	s_mov_b32 s0, 0x138800
	v_mad_u64_u32 v[4:5], s[0:1], v35, s0, v[4:5]
	s_movk_i32 s2, 0xc80
	v_lshlrev_b64 v[0:1], 3, v[0:1]
	v_mad_u64_u32 v[4:5], s[0:1], v34, s2, v[4:5]
	v_mad_u64_u32 v[5:6], s[0:1], v36, s2, v[5:6]
	v_add_co_u32_e32 v0, vcc, v4, v0
	v_addc_co_u32_e32 v1, vcc, v5, v1, vcc
	global_store_dwordx2 v[0:1], v[2:3], off
	s_endpgm
	.section	.rodata,"a",@progbits
	.p2align	6, 0x0
	.amdhsa_kernel _Z14calculateForcePA400_A400_dS1_S1_S1_dddddd
		.amdhsa_group_segment_fixed_size 0
		.amdhsa_private_segment_fixed_size 0
		.amdhsa_kernarg_size 336
		.amdhsa_user_sgpr_count 6
		.amdhsa_user_sgpr_private_segment_buffer 1
		.amdhsa_user_sgpr_dispatch_ptr 0
		.amdhsa_user_sgpr_queue_ptr 0
		.amdhsa_user_sgpr_kernarg_segment_ptr 1
		.amdhsa_user_sgpr_dispatch_id 0
		.amdhsa_user_sgpr_flat_scratch_init 0
		.amdhsa_user_sgpr_private_segment_size 0
		.amdhsa_uses_dynamic_stack 0
		.amdhsa_system_sgpr_private_segment_wavefront_offset 0
		.amdhsa_system_sgpr_workgroup_id_x 1
		.amdhsa_system_sgpr_workgroup_id_y 1
		.amdhsa_system_sgpr_workgroup_id_z 1
		.amdhsa_system_sgpr_workgroup_info 0
		.amdhsa_system_vgpr_workitem_id 2
		.amdhsa_next_free_vgpr 49
		.amdhsa_next_free_sgpr 28
		.amdhsa_reserve_vcc 1
		.amdhsa_reserve_flat_scratch 0
		.amdhsa_float_round_mode_32 0
		.amdhsa_float_round_mode_16_64 0
		.amdhsa_float_denorm_mode_32 3
		.amdhsa_float_denorm_mode_16_64 3
		.amdhsa_dx10_clamp 1
		.amdhsa_ieee_mode 1
		.amdhsa_fp16_overflow 0
		.amdhsa_exception_fp_ieee_invalid_op 0
		.amdhsa_exception_fp_denorm_src 0
		.amdhsa_exception_fp_ieee_div_zero 0
		.amdhsa_exception_fp_ieee_overflow 0
		.amdhsa_exception_fp_ieee_underflow 0
		.amdhsa_exception_fp_ieee_inexact 0
		.amdhsa_exception_int_div_zero 0
	.end_amdhsa_kernel
	.text
.Lfunc_end0:
	.size	_Z14calculateForcePA400_A400_dS1_S1_S1_dddddd, .Lfunc_end0-_Z14calculateForcePA400_A400_dS1_S1_S1_dddddd
                                        ; -- End function
	.set _Z14calculateForcePA400_A400_dS1_S1_S1_dddddd.num_vgpr, 49
	.set _Z14calculateForcePA400_A400_dS1_S1_S1_dddddd.num_agpr, 0
	.set _Z14calculateForcePA400_A400_dS1_S1_S1_dddddd.numbered_sgpr, 28
	.set _Z14calculateForcePA400_A400_dS1_S1_S1_dddddd.num_named_barrier, 0
	.set _Z14calculateForcePA400_A400_dS1_S1_S1_dddddd.private_seg_size, 0
	.set _Z14calculateForcePA400_A400_dS1_S1_S1_dddddd.uses_vcc, 1
	.set _Z14calculateForcePA400_A400_dS1_S1_S1_dddddd.uses_flat_scratch, 0
	.set _Z14calculateForcePA400_A400_dS1_S1_S1_dddddd.has_dyn_sized_stack, 0
	.set _Z14calculateForcePA400_A400_dS1_S1_S1_dddddd.has_recursion, 0
	.set _Z14calculateForcePA400_A400_dS1_S1_S1_dddddd.has_indirect_call, 0
	.section	.AMDGPU.csdata,"",@progbits
; Kernel info:
; codeLenInByte = 1852
; TotalNumSgprs: 32
; NumVgprs: 49
; ScratchSize: 0
; MemoryBound: 0
; FloatMode: 240
; IeeeMode: 1
; LDSByteSize: 0 bytes/workgroup (compile time only)
; SGPRBlocks: 3
; VGPRBlocks: 12
; NumSGPRsForWavesPerEU: 32
; NumVGPRsForWavesPerEU: 49
; Occupancy: 4
; WaveLimiterHint : 1
; COMPUTE_PGM_RSRC2:SCRATCH_EN: 0
; COMPUTE_PGM_RSRC2:USER_SGPR: 6
; COMPUTE_PGM_RSRC2:TRAP_HANDLER: 0
; COMPUTE_PGM_RSRC2:TGID_X_EN: 1
; COMPUTE_PGM_RSRC2:TGID_Y_EN: 1
; COMPUTE_PGM_RSRC2:TGID_Z_EN: 1
; COMPUTE_PGM_RSRC2:TIDIG_COMP_CNT: 2
	.text
	.protected	_Z9allenCahnPA400_A400_dS1_S1_S1_S1_S1_dddddddd ; -- Begin function _Z9allenCahnPA400_A400_dS1_S1_S1_S1_S1_dddddddd
	.globl	_Z9allenCahnPA400_A400_dS1_S1_S1_S1_S1_dddddddd
	.p2align	8
	.type	_Z9allenCahnPA400_A400_dS1_S1_S1_S1_S1_dddddddd,@function
_Z9allenCahnPA400_A400_dS1_S1_S1_S1_S1_dddddddd: ; @_Z9allenCahnPA400_A400_dS1_S1_S1_S1_S1_dddddddd
; %bb.0:
	s_load_dwordx2 s[0:1], s[4:5], 0x7c
	s_waitcnt lgkmcnt(0)
	s_and_b32 s1, s1, 0xffff
	s_lshr_b32 s2, s0, 16
	s_and_b32 s0, s0, 0xffff
	s_mul_i32 s6, s6, s0
	s_mul_i32 s7, s7, s2
	s_mul_i32 s8, s8, s1
	v_add_u32_e32 v0, s6, v0
	v_add_u32_e32 v26, s7, v1
	;; [unrolled: 1-line block ×3, first 2 shown]
	v_max3_u32 v1, v0, v26, v27
	s_movk_i32 s0, 0x18f
	v_cmp_gt_u32_e32 vcc, s0, v1
	v_cmp_ne_u32_e64 s[0:1], 0, v27
	v_cmp_ne_u32_e64 s[2:3], 0, v26
	s_and_b64 s[0:1], s[0:1], s[2:3]
	s_and_b64 s[0:1], s[0:1], vcc
	v_cmp_ne_u32_e32 vcc, 0, v0
	s_and_b64 s[0:1], vcc, s[0:1]
	s_and_saveexec_b64 s[2:3], s[0:1]
	s_cbranch_execz .LBB1_10
; %bb.1:
	s_load_dwordx8 s[8:15], s[4:5], 0x0
	s_mov_b32 s0, 0x138800
	s_load_dwordx4 s[24:27], s[4:5], 0x30
	s_waitcnt lgkmcnt(0)
	v_mov_b32_e32 v1, s10
	v_mov_b32_e32 v2, s11
	v_mad_u64_u32 v[1:2], s[0:1], v27, s0, v[1:2]
	s_movk_i32 s0, 0xc80
	v_mad_u64_u32 v[2:3], s[0:1], v26, s0, v[1:2]
	v_mov_b32_e32 v1, 0
	v_lshlrev_b64 v[4:5], 3, v[0:1]
	s_mov_b32 s0, 0x138000
	v_add_co_u32_e32 v6, vcc, v2, v4
	v_addc_co_u32_e32 v7, vcc, v3, v5, vcc
	v_add_co_u32_e32 v8, vcc, s0, v6
	v_addc_co_u32_e32 v9, vcc, 0, v7, vcc
	s_mov_b32 s0, 0xffec8000
	v_add_co_u32_e32 v10, vcc, s0, v6
	v_addc_co_u32_e32 v11, vcc, -1, v7, vcc
	global_load_dwordx2 v[12:13], v[8:9], off offset:2048
	global_load_dwordx2 v[14:15], v[10:11], off offset:-2048
	global_load_dwordx2 v[16:17], v[6:7], off offset:3200
	global_load_dwordx2 v[18:19], v[6:7], off offset:-3200
	global_load_dwordx4 v[0:3], v[6:7], off offset:-8
	global_load_dwordx2 v[20:21], v[6:7], off offset:8
	s_load_dwordx8 s[16:23], s[4:5], 0x40
	s_load_dwordx4 s[0:3], s[4:5], 0x60
	s_waitcnt lgkmcnt(0)
	v_add_f64 v[6:7], s[22:23], s[22:23]
	v_add_f64 v[8:9], s[0:1], s[0:1]
	;; [unrolled: 1-line block ×3, first 2 shown]
	s_waitcnt vmcnt(4)
	v_add_f64 v[12:13], v[12:13], -v[14:15]
	s_waitcnt vmcnt(2)
	v_add_f64 v[14:15], v[16:17], -v[18:19]
	s_waitcnt vmcnt(0)
	v_add_f64 v[16:17], v[20:21], -v[0:1]
	v_div_scale_f64 v[0:1], s[0:1], v[6:7], v[6:7], v[12:13]
	v_div_scale_f64 v[18:19], s[0:1], v[8:9], v[8:9], v[14:15]
	;; [unrolled: 1-line block ×4, first 2 shown]
	v_rcp_f64_e32 v[22:23], v[0:1]
	v_rcp_f64_e32 v[24:25], v[18:19]
	;; [unrolled: 1-line block ×3, first 2 shown]
	v_fma_f64 v[30:31], -v[0:1], v[22:23], 1.0
	v_fma_f64 v[32:33], -v[18:19], v[24:25], 1.0
	;; [unrolled: 1-line block ×3, first 2 shown]
	v_fma_f64 v[22:23], v[22:23], v[30:31], v[22:23]
	v_div_scale_f64 v[30:31], vcc, v[12:13], v[6:7], v[12:13]
	v_fma_f64 v[24:25], v[24:25], v[32:33], v[24:25]
	v_fma_f64 v[28:29], v[28:29], v[34:35], v[28:29]
	v_div_scale_f64 v[32:33], s[0:1], v[14:15], v[8:9], v[14:15]
	v_fma_f64 v[34:35], -v[0:1], v[22:23], 1.0
	v_fma_f64 v[36:37], -v[18:19], v[24:25], 1.0
	;; [unrolled: 1-line block ×3, first 2 shown]
	v_fma_f64 v[22:23], v[22:23], v[34:35], v[22:23]
	v_fma_f64 v[24:25], v[24:25], v[36:37], v[24:25]
	;; [unrolled: 1-line block ×3, first 2 shown]
	v_mul_f64 v[34:35], v[30:31], v[22:23]
	v_mul_f64 v[36:37], v[32:33], v[24:25]
	;; [unrolled: 1-line block ×3, first 2 shown]
	v_fma_f64 v[0:1], -v[0:1], v[34:35], v[30:31]
	v_fma_f64 v[18:19], -v[18:19], v[36:37], v[32:33]
	;; [unrolled: 1-line block ×3, first 2 shown]
	v_div_fmas_f64 v[0:1], v[0:1], v[22:23], v[34:35]
	s_mov_b64 vcc, s[0:1]
	v_div_fmas_f64 v[18:19], v[18:19], v[24:25], v[36:37]
	s_mov_b64 vcc, s[2:3]
	v_div_fmas_f64 v[20:21], v[20:21], v[28:29], v[40:41]
	v_div_fixup_f64 v[22:23], v[0:1], v[6:7], v[12:13]
	v_div_fixup_f64 v[0:1], v[18:19], v[8:9], v[14:15]
                                        ; implicit-def: $vgpr14_vgpr15
	v_div_fixup_f64 v[12:13], v[20:21], v[10:11], v[16:17]
	v_cmp_eq_f64_e32 vcc, 0, v[22:23]
	v_cmp_eq_f64_e64 s[0:1], 0, v[0:1]
	v_cmp_eq_f64_e64 s[2:3], 0, v[12:13]
	s_and_b64 s[0:1], vcc, s[0:1]
	s_and_b64 s[2:3], s[0:1], s[2:3]
	s_and_saveexec_b64 s[0:1], s[2:3]
	s_xor_b64 s[0:1], exec, s[0:1]
	s_cbranch_execz .LBB1_3
; %bb.2:
	v_mov_b32_e32 v14, 0xaaaaaaab
	v_mov_b32_e32 v15, 0xbffaaaaa
	v_fma_f64 v[14:15], s[24:25], v[14:15], 1.0
.LBB1_3:
	s_or_saveexec_b64 s[10:11], s[0:1]
	v_mul_f64 v[24:25], v[0:1], v[0:1]
	v_mul_f64 v[18:19], v[22:23], v[22:23]
	;; [unrolled: 1-line block ×3, first 2 shown]
	v_mul_f64 v[0:1], s[24:25], 4.0
	s_load_dwordx4 s[4:7], s[4:5], 0x20
	v_mul_f64 v[20:21], v[24:25], v[24:25]
	v_fma_f64 v[22:23], v[22:23], v[22:23], v[24:25]
	s_xor_b64 exec, exec, s[10:11]
	s_cbranch_execz .LBB1_5
; %bb.4:
	v_fma_f64 v[14:15], v[18:19], v[18:19], v[20:21]
	v_fma_f64 v[24:25], v[12:13], v[12:13], v[22:23]
	v_mov_b32_e32 v28, 0
	v_mov_b32_e32 v29, 0xc0080000
	v_fma_f64 v[28:29], s[24:25], v[28:29], 1.0
	v_fma_f64 v[14:15], v[16:17], v[16:17], v[14:15]
	v_mul_f64 v[24:25], v[24:25], v[24:25]
	v_div_scale_f64 v[30:31], s[0:1], v[28:29], v[28:29], v[0:1]
	v_div_scale_f64 v[32:33], s[0:1], v[24:25], v[24:25], v[14:15]
	;; [unrolled: 1-line block ×3, first 2 shown]
	v_rcp_f64_e32 v[34:35], v[30:31]
	v_rcp_f64_e32 v[36:37], v[32:33]
	v_fma_f64 v[38:39], -v[30:31], v[34:35], 1.0
	v_fma_f64 v[40:41], -v[32:33], v[36:37], 1.0
	v_fma_f64 v[34:35], v[34:35], v[38:39], v[34:35]
	v_fma_f64 v[36:37], v[36:37], v[40:41], v[36:37]
	v_div_scale_f64 v[40:41], vcc, v[0:1], v[28:29], v[0:1]
	v_fma_f64 v[38:39], -v[30:31], v[34:35], 1.0
	v_fma_f64 v[44:45], -v[32:33], v[36:37], 1.0
	v_fma_f64 v[34:35], v[34:35], v[38:39], v[34:35]
	v_fma_f64 v[36:37], v[36:37], v[44:45], v[36:37]
	v_mul_f64 v[38:39], v[40:41], v[34:35]
	v_mul_f64 v[44:45], v[42:43], v[36:37]
	v_fma_f64 v[30:31], -v[30:31], v[38:39], v[40:41]
	v_fma_f64 v[32:33], -v[32:33], v[44:45], v[42:43]
	v_div_fmas_f64 v[30:31], v[30:31], v[34:35], v[38:39]
	s_mov_b64 vcc, s[0:1]
	v_div_fmas_f64 v[32:33], v[32:33], v[36:37], v[44:45]
	v_div_fixup_f64 v[30:31], v[30:31], v[28:29], v[0:1]
	v_div_fixup_f64 v[14:15], v[32:33], v[24:25], v[14:15]
	v_fma_f64 v[14:15], v[30:31], v[14:15], 1.0
	v_mul_f64 v[14:15], v[28:29], v[14:15]
.LBB1_5:
	s_or_b64 exec, exec, s[10:11]
                                        ; implicit-def: $vgpr24_vgpr25
	s_and_saveexec_b64 s[0:1], s[2:3]
	s_xor_b64 s[0:1], exec, s[0:1]
	s_cbranch_execz .LBB1_7
; %bb.6:
	v_mov_b32_e32 v0, 0xaaaaaaab
	v_mov_b32_e32 v1, 0xbffaaaaa
	v_fma_f64 v[24:25], s[24:25], v[0:1], 1.0
                                        ; implicit-def: $vgpr0_vgpr1
                                        ; implicit-def: $vgpr18_vgpr19
                                        ; implicit-def: $vgpr20_vgpr21
                                        ; implicit-def: $vgpr16_vgpr17
                                        ; implicit-def: $vgpr12_vgpr13
                                        ; implicit-def: $vgpr22_vgpr23
	s_andn2_saveexec_b64 s[2:3], s[0:1]
	s_cbranch_execnz .LBB1_8
	s_branch .LBB1_9
.LBB1_7:
	s_andn2_saveexec_b64 s[2:3], s[0:1]
	s_cbranch_execz .LBB1_9
.LBB1_8:
	v_fma_f64 v[18:19], v[18:19], v[18:19], v[20:21]
	v_fma_f64 v[12:13], v[12:13], v[12:13], v[22:23]
	v_mov_b32_e32 v20, 0
	v_mov_b32_e32 v21, 0xc0080000
	v_fma_f64 v[20:21], s[24:25], v[20:21], 1.0
	v_fma_f64 v[16:17], v[16:17], v[16:17], v[18:19]
	v_mul_f64 v[12:13], v[12:13], v[12:13]
	v_div_scale_f64 v[18:19], s[0:1], v[20:21], v[20:21], v[0:1]
	v_div_scale_f64 v[22:23], s[0:1], v[12:13], v[12:13], v[16:17]
	;; [unrolled: 1-line block ×3, first 2 shown]
	v_rcp_f64_e32 v[24:25], v[18:19]
	v_rcp_f64_e32 v[28:29], v[22:23]
	v_fma_f64 v[30:31], -v[18:19], v[24:25], 1.0
	v_fma_f64 v[32:33], -v[22:23], v[28:29], 1.0
	v_fma_f64 v[24:25], v[24:25], v[30:31], v[24:25]
	v_div_scale_f64 v[30:31], vcc, v[0:1], v[20:21], v[0:1]
	v_fma_f64 v[28:29], v[28:29], v[32:33], v[28:29]
	v_fma_f64 v[32:33], -v[18:19], v[24:25], 1.0
	v_fma_f64 v[34:35], -v[22:23], v[28:29], 1.0
	v_fma_f64 v[24:25], v[24:25], v[32:33], v[24:25]
	v_fma_f64 v[28:29], v[28:29], v[34:35], v[28:29]
	v_mul_f64 v[32:33], v[30:31], v[24:25]
	v_mul_f64 v[34:35], v[36:37], v[28:29]
	v_fma_f64 v[18:19], -v[18:19], v[32:33], v[30:31]
	v_fma_f64 v[22:23], -v[22:23], v[34:35], v[36:37]
	v_div_fmas_f64 v[18:19], v[18:19], v[24:25], v[32:33]
	s_mov_b64 vcc, s[0:1]
	v_div_fmas_f64 v[22:23], v[22:23], v[28:29], v[34:35]
	v_div_fixup_f64 v[0:1], v[18:19], v[20:21], v[0:1]
	v_div_fixup_f64 v[12:13], v[22:23], v[12:13], v[16:17]
	v_fma_f64 v[0:1], v[0:1], v[12:13], 1.0
	v_mul_f64 v[24:25], v[20:21], v[0:1]
.LBB1_9:
	s_or_b64 exec, exec, s[2:3]
	v_mul_f64 v[0:1], v[14:15], v[24:25]
	s_movk_i32 s2, 0xc80
	v_mov_b32_e32 v24, s15
	s_mov_b32 s3, 0x138000
	s_waitcnt lgkmcnt(0)
	v_mov_b32_e32 v28, s7
	v_mov_b32_e32 v34, s13
	v_mul_f64 v[0:1], s[16:17], v[0:1]
	v_div_scale_f64 v[16:17], s[0:1], v[0:1], v[0:1], s[20:21]
	v_div_scale_f64 v[18:19], vcc, s[20:21], v[0:1], s[20:21]
	s_mov_b32 s0, 0x138800
	v_rcp_f64_e32 v[12:13], v[16:17]
	v_fma_f64 v[14:15], -v[16:17], v[12:13], 1.0
	v_fma_f64 v[12:13], v[12:13], v[14:15], v[12:13]
	v_fma_f64 v[14:15], -v[16:17], v[12:13], 1.0
	v_fma_f64 v[20:21], v[12:13], v[14:15], v[12:13]
	v_mad_u64_u32 v[14:15], s[0:1], v27, s0, 0
	v_mad_u64_u32 v[12:13], s[0:1], v26, s2, 0
	v_add_co_u32_e64 v25, s[0:1], s14, v14
	v_addc_co_u32_e64 v24, s[0:1], v24, v15, s[0:1]
	v_mul_f64 v[22:23], v[18:19], v[20:21]
	v_fma_f64 v[16:17], -v[16:17], v[22:23], v[18:19]
	v_add_co_u32_e64 v18, s[0:1], v25, v12
	v_addc_co_u32_e64 v19, s[0:1], v24, v13, s[0:1]
	v_add_co_u32_e64 v24, s[0:1], v18, v4
	v_addc_co_u32_e64 v25, s[0:1], v19, v5, s[0:1]
	v_div_fmas_f64 v[16:17], v[16:17], v[20:21], v[22:23]
	v_add_co_u32_e32 v18, vcc, s3, v24
	v_addc_co_u32_e32 v19, vcc, 0, v25, vcc
	v_add_co_u32_e32 v20, vcc, 0xffec8000, v24
	v_addc_co_u32_e32 v21, vcc, -1, v25, vcc
	global_load_dwordx2 v[22:23], v[18:19], off offset:2048
	global_load_dwordx2 v[24:25], v[20:21], off offset:-2048
	v_mov_b32_e32 v18, s5
	v_add_co_u32_e32 v19, vcc, s4, v14
	v_addc_co_u32_e32 v18, vcc, v18, v15, vcc
	v_add_co_u32_e32 v19, vcc, v19, v12
	v_addc_co_u32_e32 v20, vcc, v18, v13, vcc
	;; [unrolled: 2-line block ×3, first 2 shown]
	global_load_dwordx2 v[20:21], v[18:19], off offset:3200
	global_load_dwordx2 v[26:27], v[18:19], off offset:-3200
	v_add_co_u32_e32 v18, vcc, s6, v14
	v_addc_co_u32_e32 v19, vcc, v28, v15, vcc
	v_add_co_u32_e32 v18, vcc, v18, v12
	v_addc_co_u32_e32 v19, vcc, v19, v13, vcc
	;; [unrolled: 2-line block ×3, first 2 shown]
	global_load_dwordx2 v[28:29], v[18:19], off offset:8
	global_load_dwordx2 v[30:31], v[18:19], off offset:-8
	v_add_co_u32_e32 v38, vcc, s12, v14
	v_addc_co_u32_e32 v39, vcc, v34, v15, vcc
	v_div_fixup_f64 v[0:1], v[16:17], v[0:1], s[20:21]
	s_waitcnt vmcnt(4)
	v_add_f64 v[18:19], v[22:23], -v[24:25]
	v_div_scale_f64 v[22:23], s[0:1], v[6:7], v[6:7], v[18:19]
	v_div_scale_f64 v[34:35], vcc, v[18:19], v[6:7], v[18:19]
	s_waitcnt vmcnt(2)
	v_add_f64 v[20:21], v[20:21], -v[26:27]
	v_div_scale_f64 v[26:27], s[0:1], v[8:9], v[8:9], v[20:21]
	v_rcp_f64_e32 v[24:25], v[22:23]
	s_waitcnt vmcnt(0)
	v_add_f64 v[28:29], v[28:29], -v[30:31]
	v_div_scale_f64 v[32:33], s[0:1], v[10:11], v[10:11], v[28:29]
	v_add_co_u32_e64 v38, s[0:1], v38, v12
	v_addc_co_u32_e64 v39, s[0:1], v39, v13, s[0:1]
	v_fma_f64 v[30:31], -v[22:23], v[24:25], 1.0
	v_add_co_u32_e64 v38, s[0:1], v38, v4
	v_addc_co_u32_e64 v39, s[0:1], v39, v5, s[0:1]
	global_load_dwordx2 v[38:39], v[38:39], off
	v_fma_f64 v[24:25], v[24:25], v[30:31], v[24:25]
	v_rcp_f64_e32 v[30:31], v[26:27]
	v_fma_f64 v[36:37], -v[22:23], v[24:25], 1.0
	v_fma_f64 v[24:25], v[24:25], v[36:37], v[24:25]
	v_fma_f64 v[40:41], -v[26:27], v[30:31], 1.0
	v_rcp_f64_e32 v[36:37], v[32:33]
	v_fma_f64 v[30:31], v[30:31], v[40:41], v[30:31]
	v_mul_f64 v[40:41], v[34:35], v[24:25]
	v_fma_f64 v[22:23], -v[22:23], v[40:41], v[34:35]
	v_fma_f64 v[34:35], -v[32:33], v[36:37], 1.0
	v_div_fmas_f64 v[22:23], v[22:23], v[24:25], v[40:41]
	v_fma_f64 v[34:35], v[36:37], v[34:35], v[36:37]
	v_fma_f64 v[36:37], -v[26:27], v[30:31], 1.0
	v_div_scale_f64 v[24:25], vcc, v[20:21], v[8:9], v[20:21]
	v_fma_f64 v[40:41], -v[32:33], v[34:35], 1.0
	v_fma_f64 v[30:31], v[30:31], v[36:37], v[30:31]
	v_div_scale_f64 v[36:37], s[0:1], v[28:29], v[10:11], v[28:29]
	v_div_fixup_f64 v[6:7], v[22:23], v[6:7], v[18:19]
	v_fma_f64 v[34:35], v[34:35], v[40:41], v[34:35]
	v_mul_f64 v[40:41], v[24:25], v[30:31]
	v_fma_f64 v[24:25], -v[26:27], v[40:41], v[24:25]
	v_mul_f64 v[26:27], v[36:37], v[34:35]
	v_div_fmas_f64 v[24:25], v[24:25], v[30:31], v[40:41]
	v_fma_f64 v[32:33], -v[32:33], v[26:27], v[36:37]
	s_mov_b64 vcc, s[0:1]
	v_fma_f64 v[30:31], -v[2:3], v[2:3], 1.0
	v_div_fmas_f64 v[26:27], v[32:33], v[34:35], v[26:27]
	s_waitcnt vmcnt(0)
	v_mul_f64 v[32:33], s[18:19], v[38:39]
	v_mul_f64 v[18:19], v[2:3], v[30:31]
	v_div_fixup_f64 v[8:9], v[24:25], v[8:9], v[20:21]
	v_mul_f64 v[20:21], v[30:31], v[32:33]
	v_add_f64 v[6:7], v[6:7], v[8:9]
	v_div_fixup_f64 v[10:11], v[26:27], v[10:11], v[28:29]
	v_fma_f64 v[8:9], v[30:31], v[20:21], -v[18:19]
	v_add_f64 v[6:7], v[6:7], v[10:11]
	v_add_f64 v[6:7], v[6:7], -v[8:9]
	v_mov_b32_e32 v8, s9
	v_add_co_u32_e32 v9, vcc, s8, v14
	v_addc_co_u32_e32 v8, vcc, v8, v15, vcc
	v_fma_f64 v[0:1], v[0:1], v[6:7], v[2:3]
	v_add_co_u32_e32 v2, vcc, v9, v12
	v_addc_co_u32_e32 v3, vcc, v8, v13, vcc
	v_add_co_u32_e32 v2, vcc, v2, v4
	v_addc_co_u32_e32 v3, vcc, v3, v5, vcc
	global_store_dwordx2 v[2:3], v[0:1], off
.LBB1_10:
	s_endpgm
	.section	.rodata,"a",@progbits
	.p2align	6, 0x0
	.amdhsa_kernel _Z9allenCahnPA400_A400_dS1_S1_S1_S1_S1_dddddddd
		.amdhsa_group_segment_fixed_size 0
		.amdhsa_private_segment_fixed_size 0
		.amdhsa_kernarg_size 368
		.amdhsa_user_sgpr_count 6
		.amdhsa_user_sgpr_private_segment_buffer 1
		.amdhsa_user_sgpr_dispatch_ptr 0
		.amdhsa_user_sgpr_queue_ptr 0
		.amdhsa_user_sgpr_kernarg_segment_ptr 1
		.amdhsa_user_sgpr_dispatch_id 0
		.amdhsa_user_sgpr_flat_scratch_init 0
		.amdhsa_user_sgpr_private_segment_size 0
		.amdhsa_uses_dynamic_stack 0
		.amdhsa_system_sgpr_private_segment_wavefront_offset 0
		.amdhsa_system_sgpr_workgroup_id_x 1
		.amdhsa_system_sgpr_workgroup_id_y 1
		.amdhsa_system_sgpr_workgroup_id_z 1
		.amdhsa_system_sgpr_workgroup_info 0
		.amdhsa_system_vgpr_workitem_id 2
		.amdhsa_next_free_vgpr 46
		.amdhsa_next_free_sgpr 28
		.amdhsa_reserve_vcc 1
		.amdhsa_reserve_flat_scratch 0
		.amdhsa_float_round_mode_32 0
		.amdhsa_float_round_mode_16_64 0
		.amdhsa_float_denorm_mode_32 3
		.amdhsa_float_denorm_mode_16_64 3
		.amdhsa_dx10_clamp 1
		.amdhsa_ieee_mode 1
		.amdhsa_fp16_overflow 0
		.amdhsa_exception_fp_ieee_invalid_op 0
		.amdhsa_exception_fp_denorm_src 0
		.amdhsa_exception_fp_ieee_div_zero 0
		.amdhsa_exception_fp_ieee_overflow 0
		.amdhsa_exception_fp_ieee_underflow 0
		.amdhsa_exception_fp_ieee_inexact 0
		.amdhsa_exception_int_div_zero 0
	.end_amdhsa_kernel
	.text
.Lfunc_end1:
	.size	_Z9allenCahnPA400_A400_dS1_S1_S1_S1_S1_dddddddd, .Lfunc_end1-_Z9allenCahnPA400_A400_dS1_S1_S1_S1_S1_dddddddd
                                        ; -- End function
	.set _Z9allenCahnPA400_A400_dS1_S1_S1_S1_S1_dddddddd.num_vgpr, 46
	.set _Z9allenCahnPA400_A400_dS1_S1_S1_S1_S1_dddddddd.num_agpr, 0
	.set _Z9allenCahnPA400_A400_dS1_S1_S1_S1_S1_dddddddd.numbered_sgpr, 28
	.set _Z9allenCahnPA400_A400_dS1_S1_S1_S1_S1_dddddddd.num_named_barrier, 0
	.set _Z9allenCahnPA400_A400_dS1_S1_S1_S1_S1_dddddddd.private_seg_size, 0
	.set _Z9allenCahnPA400_A400_dS1_S1_S1_S1_S1_dddddddd.uses_vcc, 1
	.set _Z9allenCahnPA400_A400_dS1_S1_S1_S1_S1_dddddddd.uses_flat_scratch, 0
	.set _Z9allenCahnPA400_A400_dS1_S1_S1_S1_S1_dddddddd.has_dyn_sized_stack, 0
	.set _Z9allenCahnPA400_A400_dS1_S1_S1_S1_S1_dddddddd.has_recursion, 0
	.set _Z9allenCahnPA400_A400_dS1_S1_S1_S1_S1_dddddddd.has_indirect_call, 0
	.section	.AMDGPU.csdata,"",@progbits
; Kernel info:
; codeLenInByte = 2060
; TotalNumSgprs: 32
; NumVgprs: 46
; ScratchSize: 0
; MemoryBound: 0
; FloatMode: 240
; IeeeMode: 1
; LDSByteSize: 0 bytes/workgroup (compile time only)
; SGPRBlocks: 3
; VGPRBlocks: 11
; NumSGPRsForWavesPerEU: 32
; NumVGPRsForWavesPerEU: 46
; Occupancy: 5
; WaveLimiterHint : 1
; COMPUTE_PGM_RSRC2:SCRATCH_EN: 0
; COMPUTE_PGM_RSRC2:USER_SGPR: 6
; COMPUTE_PGM_RSRC2:TRAP_HANDLER: 0
; COMPUTE_PGM_RSRC2:TGID_X_EN: 1
; COMPUTE_PGM_RSRC2:TGID_Y_EN: 1
; COMPUTE_PGM_RSRC2:TGID_Z_EN: 1
; COMPUTE_PGM_RSRC2:TIDIG_COMP_CNT: 2
	.text
	.protected	_Z21boundaryConditionsPhiPA400_A400_d ; -- Begin function _Z21boundaryConditionsPhiPA400_A400_d
	.globl	_Z21boundaryConditionsPhiPA400_A400_d
	.p2align	8
	.type	_Z21boundaryConditionsPhiPA400_A400_d,@function
_Z21boundaryConditionsPhiPA400_A400_d:  ; @_Z21boundaryConditionsPhiPA400_A400_d
; %bb.0:
	s_load_dwordx2 s[0:1], s[4:5], 0x14
	s_waitcnt lgkmcnt(0)
	s_and_b32 s1, s1, 0xffff
	s_lshr_b32 s2, s0, 16
	s_and_b32 s0, s0, 0xffff
	s_mul_i32 s6, s6, s0
	s_mul_i32 s7, s7, s2
	;; [unrolled: 1-line block ×3, first 2 shown]
	v_add_u32_e32 v0, s6, v0
	v_add_u32_e32 v1, s7, v1
	;; [unrolled: 1-line block ×3, first 2 shown]
	v_max3_u32 v3, v0, v1, v2
	s_movk_i32 s0, 0x190
	v_cmp_gt_u32_e32 vcc, s0, v3
	s_and_saveexec_b64 s[0:1], vcc
	s_cbranch_execz .LBB2_22
; %bb.1:
	s_load_dwordx2 s[0:1], s[4:5], 0x0
	s_movk_i32 s2, 0x18e
	v_cmp_lt_i32_e32 vcc, s2, v2
	s_and_saveexec_b64 s[2:3], vcc
	s_xor_b64 s[2:3], exec, s[2:3]
	s_cbranch_execz .LBB2_3
; %bb.2:
	s_waitcnt lgkmcnt(0)
	v_mov_b32_e32 v3, s1
	s_movk_i32 s4, 0xc80
	v_mov_b32_e32 v2, s0
	v_mad_u64_u32 v[2:3], s[4:5], v1, s4, v[2:3]
	v_mov_b32_e32 v1, 0
	v_lshlrev_b64 v[4:5], 3, v[0:1]
	v_add_co_u32_e32 v0, vcc, v2, v4
	v_addc_co_u32_e32 v3, vcc, v3, v5, vcc
	v_add_co_u32_e32 v2, vcc, 0x1e70f000, v0
	v_addc_co_u32_e32 v3, vcc, 0, v3, vcc
	v_mov_b32_e32 v5, 0xbff00000
	v_mov_b32_e32 v4, v1
	global_store_dwordx2 v[2:3], v[4:5], off offset:2048
                                        ; implicit-def: $vgpr1
                                        ; implicit-def: $vgpr0
                                        ; implicit-def: $vgpr2
.LBB2_3:
	s_andn2_saveexec_b64 s[2:3], s[2:3]
	s_cbranch_execz .LBB2_22
; %bb.4:
	v_cmp_ne_u32_e32 vcc, 0, v2
	s_and_saveexec_b64 s[2:3], vcc
	s_xor_b64 s[2:3], exec, s[2:3]
	s_cbranch_execz .LBB2_20
; %bb.5:
	s_movk_i32 s4, 0x18e
	v_cmp_lt_i32_e32 vcc, s4, v1
	s_and_saveexec_b64 s[4:5], vcc
	s_xor_b64 s[4:5], exec, s[4:5]
	s_cbranch_execz .LBB2_7
; %bb.6:
	s_waitcnt lgkmcnt(0)
	v_mov_b32_e32 v4, s1
	s_mov_b32 s6, 0x138800
	v_mov_b32_e32 v3, s0
	v_mad_u64_u32 v[2:3], s[6:7], v2, s6, v[3:4]
	v_mov_b32_e32 v1, 0
	v_lshlrev_b64 v[4:5], 3, v[0:1]
	v_add_co_u32_e32 v0, vcc, v2, v4
	v_addc_co_u32_e32 v3, vcc, v3, v5, vcc
	v_add_co_u32_e32 v2, vcc, 0x137000, v0
	v_addc_co_u32_e32 v3, vcc, 0, v3, vcc
	v_mov_b32_e32 v5, 0xbff00000
	v_mov_b32_e32 v4, v1
	global_store_dwordx2 v[2:3], v[4:5], off offset:2944
                                        ; implicit-def: $vgpr2
                                        ; implicit-def: $vgpr0
                                        ; implicit-def: $vgpr1
.LBB2_7:
	s_andn2_saveexec_b64 s[4:5], s[4:5]
	s_cbranch_execz .LBB2_19
; %bb.8:
	v_cmp_ne_u32_e32 vcc, 0, v1
	s_and_saveexec_b64 s[6:7], vcc
	s_xor_b64 s[6:7], exec, s[6:7]
	s_cbranch_execz .LBB2_16
; %bb.9:
	s_movk_i32 s8, 0x18e
	v_cmp_lt_i32_e32 vcc, s8, v0
	s_and_saveexec_b64 s[8:9], vcc
	s_xor_b64 s[8:9], exec, s[8:9]
	s_cbranch_execz .LBB2_11
; %bb.10:
	s_waitcnt lgkmcnt(0)
	v_mov_b32_e32 v4, s1
	s_mov_b32 s10, 0x138800
	v_mov_b32_e32 v3, s0
	v_mad_u64_u32 v[2:3], s[10:11], v2, s10, v[3:4]
	s_movk_i32 s10, 0xc80
	v_mad_u64_u32 v[0:1], s[10:11], v1, s10, v[2:3]
	v_mov_b32_e32 v2, 0
	v_mov_b32_e32 v3, 0xbff00000
	global_store_dwordx2 v[0:1], v[2:3], off offset:3192
                                        ; implicit-def: $vgpr0
                                        ; implicit-def: $vgpr2
                                        ; implicit-def: $vgpr1
.LBB2_11:
	s_andn2_saveexec_b64 s[8:9], s[8:9]
	s_cbranch_execz .LBB2_15
; %bb.12:
	v_cmp_eq_u32_e32 vcc, 0, v0
	s_and_saveexec_b64 s[10:11], vcc
	s_cbranch_execz .LBB2_14
; %bb.13:
	s_waitcnt lgkmcnt(0)
	v_mov_b32_e32 v4, s1
	s_mov_b32 s12, 0x138800
	v_mov_b32_e32 v3, s0
	v_mad_u64_u32 v[2:3], s[12:13], v2, s12, v[3:4]
	s_movk_i32 s12, 0xc80
	v_mad_u64_u32 v[0:1], s[12:13], v1, s12, v[2:3]
	v_mov_b32_e32 v2, 0
	v_mov_b32_e32 v3, 0xbff00000
	global_store_dwordx2 v[0:1], v[2:3], off
.LBB2_14:
	s_or_b64 exec, exec, s[10:11]
.LBB2_15:
	s_or_b64 exec, exec, s[8:9]
                                        ; implicit-def: $vgpr2
                                        ; implicit-def: $vgpr0
.LBB2_16:
	s_andn2_saveexec_b64 s[6:7], s[6:7]
	s_cbranch_execz .LBB2_18
; %bb.17:
	s_waitcnt lgkmcnt(0)
	v_mov_b32_e32 v4, s1
	s_mov_b32 s8, 0x138800
	v_mov_b32_e32 v3, s0
	v_mad_u64_u32 v[2:3], s[8:9], v2, s8, v[3:4]
	v_mov_b32_e32 v1, 0
	v_lshlrev_b64 v[4:5], 3, v[0:1]
	v_add_co_u32_e32 v2, vcc, v2, v4
	v_addc_co_u32_e32 v3, vcc, v3, v5, vcc
	v_mov_b32_e32 v5, 0xbff00000
	v_mov_b32_e32 v4, v1
	global_store_dwordx2 v[2:3], v[4:5], off
.LBB2_18:
	s_or_b64 exec, exec, s[6:7]
.LBB2_19:
	s_or_b64 exec, exec, s[4:5]
                                        ; implicit-def: $vgpr1
                                        ; implicit-def: $vgpr0
.LBB2_20:
	s_andn2_saveexec_b64 s[2:3], s[2:3]
	s_cbranch_execz .LBB2_22
; %bb.21:
	s_waitcnt lgkmcnt(0)
	v_mov_b32_e32 v3, s1
	s_movk_i32 s2, 0xc80
	v_mov_b32_e32 v2, s0
	v_mad_u64_u32 v[2:3], s[0:1], v1, s2, v[2:3]
	v_mov_b32_e32 v1, 0
	v_lshlrev_b64 v[4:5], 3, v[0:1]
	v_add_co_u32_e32 v2, vcc, v2, v4
	v_addc_co_u32_e32 v3, vcc, v3, v5, vcc
	v_mov_b32_e32 v5, 0xbff00000
	v_mov_b32_e32 v4, v1
	global_store_dwordx2 v[2:3], v[4:5], off
.LBB2_22:
	s_endpgm
	.section	.rodata,"a",@progbits
	.p2align	6, 0x0
	.amdhsa_kernel _Z21boundaryConditionsPhiPA400_A400_d
		.amdhsa_group_segment_fixed_size 0
		.amdhsa_private_segment_fixed_size 0
		.amdhsa_kernarg_size 264
		.amdhsa_user_sgpr_count 6
		.amdhsa_user_sgpr_private_segment_buffer 1
		.amdhsa_user_sgpr_dispatch_ptr 0
		.amdhsa_user_sgpr_queue_ptr 0
		.amdhsa_user_sgpr_kernarg_segment_ptr 1
		.amdhsa_user_sgpr_dispatch_id 0
		.amdhsa_user_sgpr_flat_scratch_init 0
		.amdhsa_user_sgpr_private_segment_size 0
		.amdhsa_uses_dynamic_stack 0
		.amdhsa_system_sgpr_private_segment_wavefront_offset 0
		.amdhsa_system_sgpr_workgroup_id_x 1
		.amdhsa_system_sgpr_workgroup_id_y 1
		.amdhsa_system_sgpr_workgroup_id_z 1
		.amdhsa_system_sgpr_workgroup_info 0
		.amdhsa_system_vgpr_workitem_id 2
		.amdhsa_next_free_vgpr 6
		.amdhsa_next_free_sgpr 14
		.amdhsa_reserve_vcc 1
		.amdhsa_reserve_flat_scratch 0
		.amdhsa_float_round_mode_32 0
		.amdhsa_float_round_mode_16_64 0
		.amdhsa_float_denorm_mode_32 3
		.amdhsa_float_denorm_mode_16_64 3
		.amdhsa_dx10_clamp 1
		.amdhsa_ieee_mode 1
		.amdhsa_fp16_overflow 0
		.amdhsa_exception_fp_ieee_invalid_op 0
		.amdhsa_exception_fp_denorm_src 0
		.amdhsa_exception_fp_ieee_div_zero 0
		.amdhsa_exception_fp_ieee_overflow 0
		.amdhsa_exception_fp_ieee_underflow 0
		.amdhsa_exception_fp_ieee_inexact 0
		.amdhsa_exception_int_div_zero 0
	.end_amdhsa_kernel
	.text
.Lfunc_end2:
	.size	_Z21boundaryConditionsPhiPA400_A400_d, .Lfunc_end2-_Z21boundaryConditionsPhiPA400_A400_d
                                        ; -- End function
	.set _Z21boundaryConditionsPhiPA400_A400_d.num_vgpr, 6
	.set _Z21boundaryConditionsPhiPA400_A400_d.num_agpr, 0
	.set _Z21boundaryConditionsPhiPA400_A400_d.numbered_sgpr, 14
	.set _Z21boundaryConditionsPhiPA400_A400_d.num_named_barrier, 0
	.set _Z21boundaryConditionsPhiPA400_A400_d.private_seg_size, 0
	.set _Z21boundaryConditionsPhiPA400_A400_d.uses_vcc, 1
	.set _Z21boundaryConditionsPhiPA400_A400_d.uses_flat_scratch, 0
	.set _Z21boundaryConditionsPhiPA400_A400_d.has_dyn_sized_stack, 0
	.set _Z21boundaryConditionsPhiPA400_A400_d.has_recursion, 0
	.set _Z21boundaryConditionsPhiPA400_A400_d.has_indirect_call, 0
	.section	.AMDGPU.csdata,"",@progbits
; Kernel info:
; codeLenInByte = 660
; TotalNumSgprs: 18
; NumVgprs: 6
; ScratchSize: 0
; MemoryBound: 0
; FloatMode: 240
; IeeeMode: 1
; LDSByteSize: 0 bytes/workgroup (compile time only)
; SGPRBlocks: 2
; VGPRBlocks: 1
; NumSGPRsForWavesPerEU: 18
; NumVGPRsForWavesPerEU: 6
; Occupancy: 10
; WaveLimiterHint : 0
; COMPUTE_PGM_RSRC2:SCRATCH_EN: 0
; COMPUTE_PGM_RSRC2:USER_SGPR: 6
; COMPUTE_PGM_RSRC2:TRAP_HANDLER: 0
; COMPUTE_PGM_RSRC2:TGID_X_EN: 1
; COMPUTE_PGM_RSRC2:TGID_Y_EN: 1
; COMPUTE_PGM_RSRC2:TGID_Z_EN: 1
; COMPUTE_PGM_RSRC2:TIDIG_COMP_CNT: 2
	.text
	.protected	_Z15thermalEquationPA400_A400_dS1_S1_S1_ddddd ; -- Begin function _Z15thermalEquationPA400_A400_dS1_S1_S1_ddddd
	.globl	_Z15thermalEquationPA400_A400_dS1_S1_S1_ddddd
	.p2align	8
	.type	_Z15thermalEquationPA400_A400_dS1_S1_S1_ddddd,@function
_Z15thermalEquationPA400_A400_dS1_S1_S1_ddddd: ; @_Z15thermalEquationPA400_A400_dS1_S1_S1_ddddd
; %bb.0:
	s_load_dwordx2 s[0:1], s[4:5], 0x54
	s_waitcnt lgkmcnt(0)
	s_and_b32 s1, s1, 0xffff
	s_lshr_b32 s2, s0, 16
	s_and_b32 s0, s0, 0xffff
	s_mul_i32 s6, s6, s0
	s_mul_i32 s7, s7, s2
	;; [unrolled: 1-line block ×3, first 2 shown]
	v_add_u32_e32 v4, s6, v0
	v_add_u32_e32 v0, s7, v1
	v_add_u32_e32 v1, s8, v2
	v_max3_u32 v2, v4, v0, v1
	s_movk_i32 s0, 0x18f
	v_cmp_gt_u32_e32 vcc, s0, v2
	v_cmp_ne_u32_e64 s[0:1], 0, v1
	v_cmp_ne_u32_e64 s[2:3], 0, v0
	s_and_b64 s[0:1], s[0:1], s[2:3]
	s_and_b64 s[0:1], s[0:1], vcc
	v_cmp_ne_u32_e32 vcc, 0, v4
	s_and_b64 s[0:1], vcc, s[0:1]
	s_and_saveexec_b64 s[2:3], s[0:1]
	s_cbranch_execz .LBB3_2
; %bb.1:
	s_load_dwordx16 s[8:23], s[4:5], 0x0
	s_mov_b32 s0, 0x138800
	v_mad_u64_u32 v[2:3], s[0:1], v1, s0, 0
	s_movk_i32 s2, 0xc80
	v_mad_u64_u32 v[0:1], s[0:1], v0, s2, 0
	s_waitcnt lgkmcnt(0)
	v_mov_b32_e32 v5, s11
	v_add_co_u32_e32 v6, vcc, s10, v2
	v_addc_co_u32_e32 v5, vcc, v5, v3, vcc
	v_add_co_u32_e32 v6, vcc, v6, v0
	v_addc_co_u32_e32 v7, vcc, v5, v1, vcc
	v_mov_b32_e32 v5, 0
	v_lshlrev_b64 v[4:5], 3, v[4:5]
	s_mov_b32 s0, 0x138000
	v_add_co_u32_e32 v10, vcc, v6, v4
	v_addc_co_u32_e32 v11, vcc, v7, v5, vcc
	v_add_co_u32_e32 v12, vcc, s0, v10
	v_addc_co_u32_e32 v13, vcc, 0, v11, vcc
	s_mov_b32 s0, 0xffec8000
	v_add_co_u32_e32 v14, vcc, s0, v10
	v_addc_co_u32_e32 v15, vcc, -1, v11, vcc
	global_load_dwordx2 v[16:17], v[12:13], off offset:2048
	global_load_dwordx2 v[18:19], v[14:15], off offset:-2048
	global_load_dwordx2 v[20:21], v[10:11], off offset:3200
	global_load_dwordx2 v[22:23], v[10:11], off offset:-3200
	global_load_dwordx4 v[6:9], v[10:11], off offset:-8
	s_load_dwordx2 s[2:3], s[4:5], 0x40
	global_load_dwordx2 v[10:11], v[10:11], off offset:8
	s_waitcnt vmcnt(4)
	v_add_f64 v[12:13], v[16:17], v[18:19]
	v_mul_f64 v[16:17], s[20:21], s[20:21]
	s_waitcnt vmcnt(2)
	v_add_f64 v[14:15], v[20:21], v[22:23]
	v_mul_f64 v[18:19], s[22:23], s[22:23]
	s_waitcnt vmcnt(0)
	v_add_f64 v[6:7], v[10:11], v[6:7]
	v_fma_f64 v[12:13], v[8:9], -2.0, v[12:13]
	v_fma_f64 v[14:15], v[8:9], -2.0, v[14:15]
	;; [unrolled: 1-line block ×3, first 2 shown]
	v_div_scale_f64 v[20:21], s[0:1], v[16:17], v[16:17], v[12:13]
	v_div_scale_f64 v[22:23], s[0:1], v[18:19], v[18:19], v[14:15]
	v_rcp_f64_e32 v[24:25], v[20:21]
	v_rcp_f64_e32 v[26:27], v[22:23]
	v_fma_f64 v[28:29], -v[20:21], v[24:25], 1.0
	v_fma_f64 v[30:31], -v[22:23], v[26:27], 1.0
	v_fma_f64 v[24:25], v[24:25], v[28:29], v[24:25]
	v_fma_f64 v[26:27], v[26:27], v[30:31], v[26:27]
	v_div_scale_f64 v[30:31], vcc, v[12:13], v[16:17], v[12:13]
	v_fma_f64 v[28:29], -v[20:21], v[24:25], 1.0
	v_fma_f64 v[24:25], v[24:25], v[28:29], v[24:25]
	v_fma_f64 v[28:29], -v[22:23], v[26:27], 1.0
	v_fma_f64 v[26:27], v[26:27], v[28:29], v[26:27]
	v_mul_f64 v[28:29], v[30:31], v[24:25]
	v_fma_f64 v[20:21], -v[20:21], v[28:29], v[30:31]
	v_div_scale_f64 v[30:31], s[0:1], v[14:15], v[18:19], v[14:15]
	v_div_fmas_f64 v[10:11], v[20:21], v[24:25], v[28:29]
	s_waitcnt lgkmcnt(0)
	v_mul_f64 v[24:25], s[2:3], s[2:3]
	s_mov_b64 vcc, s[0:1]
	v_mul_f64 v[20:21], v[30:31], v[26:27]
	v_div_scale_f64 v[28:29], s[2:3], v[24:25], v[24:25], v[6:7]
	v_div_fixup_f64 v[10:11], v[10:11], v[16:17], v[12:13]
	v_fma_f64 v[22:23], -v[22:23], v[20:21], v[30:31]
	v_div_fmas_f64 v[20:21], v[22:23], v[26:27], v[20:21]
	v_rcp_f64_e32 v[22:23], v[28:29]
	v_div_fixup_f64 v[12:13], v[20:21], v[18:19], v[14:15]
	v_fma_f64 v[26:27], -v[28:29], v[22:23], 1.0
	v_add_f64 v[10:11], v[10:11], v[12:13]
	v_fma_f64 v[22:23], v[22:23], v[26:27], v[22:23]
	v_mov_b32_e32 v12, s18
	v_mov_b32_e32 v13, s19
	v_mul_f64 v[12:13], s[16:17], v[12:13]
	v_fma_f64 v[26:27], -v[28:29], v[22:23], 1.0
	v_fma_f64 v[22:23], v[22:23], v[26:27], v[22:23]
	v_div_scale_f64 v[26:27], vcc, v[6:7], v[24:25], v[6:7]
	v_mul_f64 v[30:31], v[26:27], v[22:23]
	v_fma_f64 v[26:27], -v[28:29], v[30:31], v[26:27]
	v_mov_b32_e32 v28, s15
	s_nop 0
	v_div_fmas_f64 v[22:23], v[26:27], v[22:23], v[30:31]
	v_mov_b32_e32 v26, s13
	v_add_co_u32_e32 v27, vcc, s12, v2
	v_addc_co_u32_e32 v26, vcc, v26, v3, vcc
	v_add_co_u32_e32 v27, vcc, v27, v0
	v_addc_co_u32_e32 v29, vcc, v26, v1, vcc
	;; [unrolled: 2-line block ×6, first 2 shown]
	global_load_dwordx2 v[26:27], v[26:27], off
	s_nop 0
	global_load_dwordx2 v[28:29], v[28:29], off
	v_div_fixup_f64 v[6:7], v[22:23], v[24:25], v[6:7]
	v_add_f64 v[6:7], v[10:11], v[6:7]
	v_mov_b32_e32 v10, s9
	v_add_co_u32_e32 v11, vcc, s8, v2
	v_addc_co_u32_e32 v10, vcc, v10, v3, vcc
	v_add_co_u32_e32 v0, vcc, v11, v0
	v_addc_co_u32_e32 v1, vcc, v10, v1, vcc
	;; [unrolled: 2-line block ×3, first 2 shown]
	s_waitcnt vmcnt(0)
	v_add_f64 v[14:15], v[26:27], -v[28:29]
	v_fma_f64 v[8:9], v[14:15], 0.5, v[8:9]
	v_fma_f64 v[2:3], v[12:13], v[6:7], v[8:9]
	global_store_dwordx2 v[0:1], v[2:3], off
.LBB3_2:
	s_endpgm
	.section	.rodata,"a",@progbits
	.p2align	6, 0x0
	.amdhsa_kernel _Z15thermalEquationPA400_A400_dS1_S1_S1_ddddd
		.amdhsa_group_segment_fixed_size 0
		.amdhsa_private_segment_fixed_size 0
		.amdhsa_kernarg_size 328
		.amdhsa_user_sgpr_count 6
		.amdhsa_user_sgpr_private_segment_buffer 1
		.amdhsa_user_sgpr_dispatch_ptr 0
		.amdhsa_user_sgpr_queue_ptr 0
		.amdhsa_user_sgpr_kernarg_segment_ptr 1
		.amdhsa_user_sgpr_dispatch_id 0
		.amdhsa_user_sgpr_flat_scratch_init 0
		.amdhsa_user_sgpr_private_segment_size 0
		.amdhsa_uses_dynamic_stack 0
		.amdhsa_system_sgpr_private_segment_wavefront_offset 0
		.amdhsa_system_sgpr_workgroup_id_x 1
		.amdhsa_system_sgpr_workgroup_id_y 1
		.amdhsa_system_sgpr_workgroup_id_z 1
		.amdhsa_system_sgpr_workgroup_info 0
		.amdhsa_system_vgpr_workitem_id 2
		.amdhsa_next_free_vgpr 32
		.amdhsa_next_free_sgpr 24
		.amdhsa_reserve_vcc 1
		.amdhsa_reserve_flat_scratch 0
		.amdhsa_float_round_mode_32 0
		.amdhsa_float_round_mode_16_64 0
		.amdhsa_float_denorm_mode_32 3
		.amdhsa_float_denorm_mode_16_64 3
		.amdhsa_dx10_clamp 1
		.amdhsa_ieee_mode 1
		.amdhsa_fp16_overflow 0
		.amdhsa_exception_fp_ieee_invalid_op 0
		.amdhsa_exception_fp_denorm_src 0
		.amdhsa_exception_fp_ieee_div_zero 0
		.amdhsa_exception_fp_ieee_overflow 0
		.amdhsa_exception_fp_ieee_underflow 0
		.amdhsa_exception_fp_ieee_inexact 0
		.amdhsa_exception_int_div_zero 0
	.end_amdhsa_kernel
	.text
.Lfunc_end3:
	.size	_Z15thermalEquationPA400_A400_dS1_S1_S1_ddddd, .Lfunc_end3-_Z15thermalEquationPA400_A400_dS1_S1_S1_ddddd
                                        ; -- End function
	.set _Z15thermalEquationPA400_A400_dS1_S1_S1_ddddd.num_vgpr, 32
	.set _Z15thermalEquationPA400_A400_dS1_S1_S1_ddddd.num_agpr, 0
	.set _Z15thermalEquationPA400_A400_dS1_S1_S1_ddddd.numbered_sgpr, 24
	.set _Z15thermalEquationPA400_A400_dS1_S1_S1_ddddd.num_named_barrier, 0
	.set _Z15thermalEquationPA400_A400_dS1_S1_S1_ddddd.private_seg_size, 0
	.set _Z15thermalEquationPA400_A400_dS1_S1_S1_ddddd.uses_vcc, 1
	.set _Z15thermalEquationPA400_A400_dS1_S1_S1_ddddd.uses_flat_scratch, 0
	.set _Z15thermalEquationPA400_A400_dS1_S1_S1_ddddd.has_dyn_sized_stack, 0
	.set _Z15thermalEquationPA400_A400_dS1_S1_S1_ddddd.has_recursion, 0
	.set _Z15thermalEquationPA400_A400_dS1_S1_S1_ddddd.has_indirect_call, 0
	.section	.AMDGPU.csdata,"",@progbits
; Kernel info:
; codeLenInByte = 804
; TotalNumSgprs: 28
; NumVgprs: 32
; ScratchSize: 0
; MemoryBound: 0
; FloatMode: 240
; IeeeMode: 1
; LDSByteSize: 0 bytes/workgroup (compile time only)
; SGPRBlocks: 3
; VGPRBlocks: 7
; NumSGPRsForWavesPerEU: 28
; NumVGPRsForWavesPerEU: 32
; Occupancy: 8
; WaveLimiterHint : 1
; COMPUTE_PGM_RSRC2:SCRATCH_EN: 0
; COMPUTE_PGM_RSRC2:USER_SGPR: 6
; COMPUTE_PGM_RSRC2:TRAP_HANDLER: 0
; COMPUTE_PGM_RSRC2:TGID_X_EN: 1
; COMPUTE_PGM_RSRC2:TGID_Y_EN: 1
; COMPUTE_PGM_RSRC2:TGID_Z_EN: 1
; COMPUTE_PGM_RSRC2:TIDIG_COMP_CNT: 2
	.text
	.protected	_Z19boundaryConditionsUPA400_A400_dd ; -- Begin function _Z19boundaryConditionsUPA400_A400_dd
	.globl	_Z19boundaryConditionsUPA400_A400_dd
	.p2align	8
	.type	_Z19boundaryConditionsUPA400_A400_dd,@function
_Z19boundaryConditionsUPA400_A400_dd:   ; @_Z19boundaryConditionsUPA400_A400_dd
; %bb.0:
	s_load_dwordx2 s[0:1], s[4:5], 0x1c
	s_waitcnt lgkmcnt(0)
	s_and_b32 s1, s1, 0xffff
	s_lshr_b32 s2, s0, 16
	s_and_b32 s0, s0, 0xffff
	s_mul_i32 s6, s6, s0
	s_mul_i32 s7, s7, s2
	;; [unrolled: 1-line block ×3, first 2 shown]
	v_add_u32_e32 v0, s6, v0
	v_add_u32_e32 v1, s7, v1
	;; [unrolled: 1-line block ×3, first 2 shown]
	v_max3_u32 v3, v0, v1, v2
	s_movk_i32 s0, 0x190
	v_cmp_gt_u32_e32 vcc, s0, v3
	s_and_saveexec_b64 s[0:1], vcc
	s_cbranch_execz .LBB4_22
; %bb.1:
	s_load_dwordx4 s[0:3], s[4:5], 0x0
	s_movk_i32 s4, 0x18e
	v_cmp_lt_i32_e32 vcc, s4, v2
	s_and_saveexec_b64 s[4:5], vcc
	s_xor_b64 s[4:5], exec, s[4:5]
	s_cbranch_execz .LBB4_3
; %bb.2:
	s_waitcnt lgkmcnt(0)
	s_xor_b32 s6, s3, 0x80000000
	v_mov_b32_e32 v5, s1
	v_mov_b32_e32 v3, s6
	s_movk_i32 s6, 0xc80
	v_mov_b32_e32 v4, s0
	v_mad_u64_u32 v[4:5], s[6:7], v1, s6, v[4:5]
	v_mov_b32_e32 v1, 0
	v_lshlrev_b64 v[0:1], 3, v[0:1]
	v_mov_b32_e32 v2, s2
	v_add_co_u32_e32 v0, vcc, v4, v0
	v_addc_co_u32_e32 v1, vcc, v5, v1, vcc
	v_add_co_u32_e32 v0, vcc, 0x1e70f000, v0
	v_addc_co_u32_e32 v1, vcc, 0, v1, vcc
	global_store_dwordx2 v[0:1], v[2:3], off offset:2048
                                        ; implicit-def: $vgpr1
                                        ; implicit-def: $vgpr0
                                        ; implicit-def: $vgpr2
.LBB4_3:
	s_andn2_saveexec_b64 s[4:5], s[4:5]
	s_cbranch_execz .LBB4_22
; %bb.4:
	v_cmp_ne_u32_e32 vcc, 0, v2
	s_and_saveexec_b64 s[4:5], vcc
	s_xor_b64 s[4:5], exec, s[4:5]
	s_cbranch_execz .LBB4_20
; %bb.5:
	s_movk_i32 s6, 0x18e
	v_cmp_lt_i32_e32 vcc, s6, v1
	s_and_saveexec_b64 s[6:7], vcc
	s_xor_b64 s[6:7], exec, s[6:7]
	s_cbranch_execz .LBB4_7
; %bb.6:
	s_waitcnt lgkmcnt(0)
	s_xor_b32 s8, s3, 0x80000000
	v_mov_b32_e32 v6, s1
	v_mov_b32_e32 v4, s8
	s_mov_b32 s8, 0x138800
	v_mov_b32_e32 v5, s0
	v_mad_u64_u32 v[5:6], s[8:9], v2, s8, v[5:6]
	v_mov_b32_e32 v1, 0
	v_lshlrev_b64 v[0:1], 3, v[0:1]
	v_mov_b32_e32 v3, s2
	v_add_co_u32_e32 v0, vcc, v5, v0
	v_addc_co_u32_e32 v1, vcc, v6, v1, vcc
	v_add_co_u32_e32 v0, vcc, 0x137000, v0
	v_addc_co_u32_e32 v1, vcc, 0, v1, vcc
	global_store_dwordx2 v[0:1], v[3:4], off offset:2944
                                        ; implicit-def: $vgpr2
                                        ; implicit-def: $vgpr0
                                        ; implicit-def: $vgpr1
.LBB4_7:
	s_andn2_saveexec_b64 s[6:7], s[6:7]
	s_cbranch_execz .LBB4_19
; %bb.8:
	v_cmp_ne_u32_e32 vcc, 0, v1
	s_and_saveexec_b64 s[8:9], vcc
	s_xor_b64 s[8:9], exec, s[8:9]
	s_cbranch_execz .LBB4_16
; %bb.9:
	s_movk_i32 s10, 0x18e
	v_cmp_lt_i32_e32 vcc, s10, v0
	s_and_saveexec_b64 s[10:11], vcc
	s_xor_b64 s[10:11], exec, s[10:11]
	s_cbranch_execz .LBB4_11
; %bb.10:
	s_waitcnt lgkmcnt(0)
	v_mov_b32_e32 v4, s1
	s_mov_b32 s12, 0x138800
	v_mov_b32_e32 v3, s0
	v_mad_u64_u32 v[2:3], s[12:13], v2, s12, v[3:4]
	s_movk_i32 s12, 0xc80
	v_mad_u64_u32 v[0:1], s[12:13], v1, s12, v[2:3]
	s_xor_b32 s12, s3, 0x80000000
	v_mov_b32_e32 v2, s2
	v_mov_b32_e32 v3, s12
	global_store_dwordx2 v[0:1], v[2:3], off offset:3192
                                        ; implicit-def: $vgpr0
                                        ; implicit-def: $vgpr2
                                        ; implicit-def: $vgpr1
.LBB4_11:
	s_andn2_saveexec_b64 s[10:11], s[10:11]
	s_cbranch_execz .LBB4_15
; %bb.12:
	v_cmp_eq_u32_e32 vcc, 0, v0
	s_and_saveexec_b64 s[12:13], vcc
	s_cbranch_execz .LBB4_14
; %bb.13:
	s_waitcnt lgkmcnt(0)
	v_mov_b32_e32 v4, s1
	s_mov_b32 s14, 0x138800
	v_mov_b32_e32 v3, s0
	v_mad_u64_u32 v[2:3], s[14:15], v2, s14, v[3:4]
	s_movk_i32 s14, 0xc80
	v_mad_u64_u32 v[0:1], s[14:15], v1, s14, v[2:3]
	s_xor_b32 s14, s3, 0x80000000
	v_mov_b32_e32 v2, s2
	v_mov_b32_e32 v3, s14
	global_store_dwordx2 v[0:1], v[2:3], off
.LBB4_14:
	s_or_b64 exec, exec, s[12:13]
.LBB4_15:
	s_or_b64 exec, exec, s[10:11]
                                        ; implicit-def: $vgpr2
                                        ; implicit-def: $vgpr0
.LBB4_16:
	s_andn2_saveexec_b64 s[8:9], s[8:9]
	s_cbranch_execz .LBB4_18
; %bb.17:
	s_waitcnt lgkmcnt(0)
	s_xor_b32 s10, s3, 0x80000000
	v_mov_b32_e32 v6, s1
	v_mov_b32_e32 v4, s10
	s_mov_b32 s10, 0x138800
	v_mov_b32_e32 v5, s0
	v_mad_u64_u32 v[5:6], s[10:11], v2, s10, v[5:6]
	v_mov_b32_e32 v1, 0
	v_lshlrev_b64 v[0:1], 3, v[0:1]
	v_mov_b32_e32 v3, s2
	v_add_co_u32_e32 v0, vcc, v5, v0
	v_addc_co_u32_e32 v1, vcc, v6, v1, vcc
	global_store_dwordx2 v[0:1], v[3:4], off
.LBB4_18:
	s_or_b64 exec, exec, s[8:9]
.LBB4_19:
	s_or_b64 exec, exec, s[6:7]
                                        ; implicit-def: $vgpr1
                                        ; implicit-def: $vgpr0
.LBB4_20:
	s_andn2_saveexec_b64 s[4:5], s[4:5]
	s_cbranch_execz .LBB4_22
; %bb.21:
	s_waitcnt lgkmcnt(0)
	v_mov_b32_e32 v5, s1
	v_mov_b32_e32 v2, s2
	s_movk_i32 s2, 0xc80
	v_mov_b32_e32 v4, s0
	v_mad_u64_u32 v[4:5], s[0:1], v1, s2, v[4:5]
	v_mov_b32_e32 v1, 0
	v_lshlrev_b64 v[0:1], 3, v[0:1]
	s_xor_b32 s3, s3, 0x80000000
	v_add_co_u32_e32 v0, vcc, v4, v0
	v_mov_b32_e32 v3, s3
	v_addc_co_u32_e32 v1, vcc, v5, v1, vcc
	global_store_dwordx2 v[0:1], v[2:3], off
.LBB4_22:
	s_endpgm
	.section	.rodata,"a",@progbits
	.p2align	6, 0x0
	.amdhsa_kernel _Z19boundaryConditionsUPA400_A400_dd
		.amdhsa_group_segment_fixed_size 0
		.amdhsa_private_segment_fixed_size 0
		.amdhsa_kernarg_size 272
		.amdhsa_user_sgpr_count 6
		.amdhsa_user_sgpr_private_segment_buffer 1
		.amdhsa_user_sgpr_dispatch_ptr 0
		.amdhsa_user_sgpr_queue_ptr 0
		.amdhsa_user_sgpr_kernarg_segment_ptr 1
		.amdhsa_user_sgpr_dispatch_id 0
		.amdhsa_user_sgpr_flat_scratch_init 0
		.amdhsa_user_sgpr_private_segment_size 0
		.amdhsa_uses_dynamic_stack 0
		.amdhsa_system_sgpr_private_segment_wavefront_offset 0
		.amdhsa_system_sgpr_workgroup_id_x 1
		.amdhsa_system_sgpr_workgroup_id_y 1
		.amdhsa_system_sgpr_workgroup_id_z 1
		.amdhsa_system_sgpr_workgroup_info 0
		.amdhsa_system_vgpr_workitem_id 2
		.amdhsa_next_free_vgpr 7
		.amdhsa_next_free_sgpr 16
		.amdhsa_reserve_vcc 1
		.amdhsa_reserve_flat_scratch 0
		.amdhsa_float_round_mode_32 0
		.amdhsa_float_round_mode_16_64 0
		.amdhsa_float_denorm_mode_32 3
		.amdhsa_float_denorm_mode_16_64 3
		.amdhsa_dx10_clamp 1
		.amdhsa_ieee_mode 1
		.amdhsa_fp16_overflow 0
		.amdhsa_exception_fp_ieee_invalid_op 0
		.amdhsa_exception_fp_denorm_src 0
		.amdhsa_exception_fp_ieee_div_zero 0
		.amdhsa_exception_fp_ieee_overflow 0
		.amdhsa_exception_fp_ieee_underflow 0
		.amdhsa_exception_fp_ieee_inexact 0
		.amdhsa_exception_int_div_zero 0
	.end_amdhsa_kernel
	.text
.Lfunc_end4:
	.size	_Z19boundaryConditionsUPA400_A400_dd, .Lfunc_end4-_Z19boundaryConditionsUPA400_A400_dd
                                        ; -- End function
	.set _Z19boundaryConditionsUPA400_A400_dd.num_vgpr, 7
	.set _Z19boundaryConditionsUPA400_A400_dd.num_agpr, 0
	.set _Z19boundaryConditionsUPA400_A400_dd.numbered_sgpr, 16
	.set _Z19boundaryConditionsUPA400_A400_dd.num_named_barrier, 0
	.set _Z19boundaryConditionsUPA400_A400_dd.private_seg_size, 0
	.set _Z19boundaryConditionsUPA400_A400_dd.uses_vcc, 1
	.set _Z19boundaryConditionsUPA400_A400_dd.uses_flat_scratch, 0
	.set _Z19boundaryConditionsUPA400_A400_dd.has_dyn_sized_stack, 0
	.set _Z19boundaryConditionsUPA400_A400_dd.has_recursion, 0
	.set _Z19boundaryConditionsUPA400_A400_dd.has_indirect_call, 0
	.section	.AMDGPU.csdata,"",@progbits
; Kernel info:
; codeLenInByte = 684
; TotalNumSgprs: 20
; NumVgprs: 7
; ScratchSize: 0
; MemoryBound: 0
; FloatMode: 240
; IeeeMode: 1
; LDSByteSize: 0 bytes/workgroup (compile time only)
; SGPRBlocks: 2
; VGPRBlocks: 1
; NumSGPRsForWavesPerEU: 20
; NumVGPRsForWavesPerEU: 7
; Occupancy: 10
; WaveLimiterHint : 0
; COMPUTE_PGM_RSRC2:SCRATCH_EN: 0
; COMPUTE_PGM_RSRC2:USER_SGPR: 6
; COMPUTE_PGM_RSRC2:TRAP_HANDLER: 0
; COMPUTE_PGM_RSRC2:TGID_X_EN: 1
; COMPUTE_PGM_RSRC2:TGID_Y_EN: 1
; COMPUTE_PGM_RSRC2:TGID_Z_EN: 1
; COMPUTE_PGM_RSRC2:TIDIG_COMP_CNT: 2
	.text
	.protected	_Z8swapGridPA400_A400_dS1_ ; -- Begin function _Z8swapGridPA400_A400_dS1_
	.globl	_Z8swapGridPA400_A400_dS1_
	.p2align	8
	.type	_Z8swapGridPA400_A400_dS1_,@function
_Z8swapGridPA400_A400_dS1_:             ; @_Z8swapGridPA400_A400_dS1_
; %bb.0:
	s_load_dwordx2 s[0:1], s[4:5], 0x1c
	s_waitcnt lgkmcnt(0)
	s_and_b32 s1, s1, 0xffff
	s_lshr_b32 s2, s0, 16
	s_and_b32 s0, s0, 0xffff
	s_mul_i32 s6, s6, s0
	s_mul_i32 s7, s7, s2
	;; [unrolled: 1-line block ×3, first 2 shown]
	v_add_u32_e32 v0, s6, v0
	v_add_u32_e32 v3, s7, v1
	;; [unrolled: 1-line block ×3, first 2 shown]
	v_max3_u32 v2, v0, v3, v1
	s_movk_i32 s0, 0x190
	v_cmp_gt_u32_e32 vcc, s0, v2
	s_and_saveexec_b64 s[0:1], vcc
	s_cbranch_execz .LBB5_2
; %bb.1:
	s_load_dwordx4 s[0:3], s[4:5], 0x0
	s_mov_b32 s4, 0x138800
	s_movk_i32 s5, 0xc80
	s_waitcnt lgkmcnt(0)
	v_mov_b32_e32 v4, s2
	v_mov_b32_e32 v5, s3
	v_mad_u64_u32 v[4:5], s[2:3], v1, s4, v[4:5]
	v_mov_b32_e32 v6, s0
	v_mov_b32_e32 v7, s1
	v_mad_u64_u32 v[6:7], s[0:1], v1, s4, v[6:7]
	v_mad_u64_u32 v[4:5], s[0:1], v3, s5, v[4:5]
	v_mov_b32_e32 v1, 0
	v_lshlrev_b64 v[0:1], 3, v[0:1]
	v_mad_u64_u32 v[2:3], s[0:1], v3, s5, v[6:7]
	v_add_co_u32_e32 v4, vcc, v4, v0
	v_addc_co_u32_e32 v5, vcc, v5, v1, vcc
	v_add_co_u32_e32 v0, vcc, v2, v0
	v_addc_co_u32_e32 v1, vcc, v3, v1, vcc
	global_load_dwordx2 v[2:3], v[4:5], off
	global_load_dwordx2 v[6:7], v[0:1], off
	s_waitcnt vmcnt(1)
	global_store_dwordx2 v[0:1], v[2:3], off
	s_waitcnt vmcnt(1)
	global_store_dwordx2 v[4:5], v[6:7], off
.LBB5_2:
	s_endpgm
	.section	.rodata,"a",@progbits
	.p2align	6, 0x0
	.amdhsa_kernel _Z8swapGridPA400_A400_dS1_
		.amdhsa_group_segment_fixed_size 0
		.amdhsa_private_segment_fixed_size 0
		.amdhsa_kernarg_size 272
		.amdhsa_user_sgpr_count 6
		.amdhsa_user_sgpr_private_segment_buffer 1
		.amdhsa_user_sgpr_dispatch_ptr 0
		.amdhsa_user_sgpr_queue_ptr 0
		.amdhsa_user_sgpr_kernarg_segment_ptr 1
		.amdhsa_user_sgpr_dispatch_id 0
		.amdhsa_user_sgpr_flat_scratch_init 0
		.amdhsa_user_sgpr_private_segment_size 0
		.amdhsa_uses_dynamic_stack 0
		.amdhsa_system_sgpr_private_segment_wavefront_offset 0
		.amdhsa_system_sgpr_workgroup_id_x 1
		.amdhsa_system_sgpr_workgroup_id_y 1
		.amdhsa_system_sgpr_workgroup_id_z 1
		.amdhsa_system_sgpr_workgroup_info 0
		.amdhsa_system_vgpr_workitem_id 2
		.amdhsa_next_free_vgpr 8
		.amdhsa_next_free_sgpr 9
		.amdhsa_reserve_vcc 1
		.amdhsa_reserve_flat_scratch 0
		.amdhsa_float_round_mode_32 0
		.amdhsa_float_round_mode_16_64 0
		.amdhsa_float_denorm_mode_32 3
		.amdhsa_float_denorm_mode_16_64 3
		.amdhsa_dx10_clamp 1
		.amdhsa_ieee_mode 1
		.amdhsa_fp16_overflow 0
		.amdhsa_exception_fp_ieee_invalid_op 0
		.amdhsa_exception_fp_denorm_src 0
		.amdhsa_exception_fp_ieee_div_zero 0
		.amdhsa_exception_fp_ieee_overflow 0
		.amdhsa_exception_fp_ieee_underflow 0
		.amdhsa_exception_fp_ieee_inexact 0
		.amdhsa_exception_int_div_zero 0
	.end_amdhsa_kernel
	.text
.Lfunc_end5:
	.size	_Z8swapGridPA400_A400_dS1_, .Lfunc_end5-_Z8swapGridPA400_A400_dS1_
                                        ; -- End function
	.set _Z8swapGridPA400_A400_dS1_.num_vgpr, 8
	.set _Z8swapGridPA400_A400_dS1_.num_agpr, 0
	.set _Z8swapGridPA400_A400_dS1_.numbered_sgpr, 9
	.set _Z8swapGridPA400_A400_dS1_.num_named_barrier, 0
	.set _Z8swapGridPA400_A400_dS1_.private_seg_size, 0
	.set _Z8swapGridPA400_A400_dS1_.uses_vcc, 1
	.set _Z8swapGridPA400_A400_dS1_.uses_flat_scratch, 0
	.set _Z8swapGridPA400_A400_dS1_.has_dyn_sized_stack, 0
	.set _Z8swapGridPA400_A400_dS1_.has_recursion, 0
	.set _Z8swapGridPA400_A400_dS1_.has_indirect_call, 0
	.section	.AMDGPU.csdata,"",@progbits
; Kernel info:
; codeLenInByte = 224
; TotalNumSgprs: 13
; NumVgprs: 8
; ScratchSize: 0
; MemoryBound: 0
; FloatMode: 240
; IeeeMode: 1
; LDSByteSize: 0 bytes/workgroup (compile time only)
; SGPRBlocks: 1
; VGPRBlocks: 1
; NumSGPRsForWavesPerEU: 13
; NumVGPRsForWavesPerEU: 8
; Occupancy: 10
; WaveLimiterHint : 0
; COMPUTE_PGM_RSRC2:SCRATCH_EN: 0
; COMPUTE_PGM_RSRC2:USER_SGPR: 6
; COMPUTE_PGM_RSRC2:TRAP_HANDLER: 0
; COMPUTE_PGM_RSRC2:TGID_X_EN: 1
; COMPUTE_PGM_RSRC2:TGID_Y_EN: 1
; COMPUTE_PGM_RSRC2:TGID_Z_EN: 1
; COMPUTE_PGM_RSRC2:TIDIG_COMP_CNT: 2
	.section	.AMDGPU.gpr_maximums,"",@progbits
	.set amdgpu.max_num_vgpr, 0
	.set amdgpu.max_num_agpr, 0
	.set amdgpu.max_num_sgpr, 0
	.section	.AMDGPU.csdata,"",@progbits
	.type	__hip_cuid_7de069c2eef745fa,@object ; @__hip_cuid_7de069c2eef745fa
	.section	.bss,"aw",@nobits
	.globl	__hip_cuid_7de069c2eef745fa
__hip_cuid_7de069c2eef745fa:
	.byte	0                               ; 0x0
	.size	__hip_cuid_7de069c2eef745fa, 1

	.ident	"AMD clang version 22.0.0git (https://github.com/RadeonOpenCompute/llvm-project roc-7.2.4 26084 f58b06dce1f9c15707c5f808fd002e18c2accf7e)"
	.section	".note.GNU-stack","",@progbits
	.addrsig
	.addrsig_sym __hip_cuid_7de069c2eef745fa
	.amdgpu_metadata
---
amdhsa.kernels:
  - .args:
      - .address_space:  global
        .offset:         0
        .size:           8
        .value_kind:     global_buffer
      - .address_space:  global
        .offset:         8
        .size:           8
        .value_kind:     global_buffer
      - .address_space:  global
        .offset:         16
        .size:           8
        .value_kind:     global_buffer
      - .address_space:  global
        .offset:         24
        .size:           8
        .value_kind:     global_buffer
      - .offset:         32
        .size:           8
        .value_kind:     by_value
      - .offset:         40
        .size:           8
        .value_kind:     by_value
      - .offset:         48
        .size:           8
        .value_kind:     by_value
      - .offset:         56
        .size:           8
        .value_kind:     by_value
      - .offset:         64
        .size:           8
        .value_kind:     by_value
      - .offset:         72
        .size:           8
        .value_kind:     by_value
      - .offset:         80
        .size:           4
        .value_kind:     hidden_block_count_x
      - .offset:         84
        .size:           4
        .value_kind:     hidden_block_count_y
      - .offset:         88
        .size:           4
        .value_kind:     hidden_block_count_z
      - .offset:         92
        .size:           2
        .value_kind:     hidden_group_size_x
      - .offset:         94
        .size:           2
        .value_kind:     hidden_group_size_y
      - .offset:         96
        .size:           2
        .value_kind:     hidden_group_size_z
      - .offset:         98
        .size:           2
        .value_kind:     hidden_remainder_x
      - .offset:         100
        .size:           2
        .value_kind:     hidden_remainder_y
      - .offset:         102
        .size:           2
        .value_kind:     hidden_remainder_z
      - .offset:         120
        .size:           8
        .value_kind:     hidden_global_offset_x
      - .offset:         128
        .size:           8
        .value_kind:     hidden_global_offset_y
      - .offset:         136
        .size:           8
        .value_kind:     hidden_global_offset_z
      - .offset:         144
        .size:           2
        .value_kind:     hidden_grid_dims
    .group_segment_fixed_size: 0
    .kernarg_segment_align: 8
    .kernarg_segment_size: 336
    .language:       OpenCL C
    .language_version:
      - 2
      - 0
    .max_flat_workgroup_size: 1024
    .name:           _Z14calculateForcePA400_A400_dS1_S1_S1_dddddd
    .private_segment_fixed_size: 0
    .sgpr_count:     32
    .sgpr_spill_count: 0
    .symbol:         _Z14calculateForcePA400_A400_dS1_S1_S1_dddddd.kd
    .uniform_work_group_size: 1
    .uses_dynamic_stack: false
    .vgpr_count:     49
    .vgpr_spill_count: 0
    .wavefront_size: 64
  - .args:
      - .address_space:  global
        .offset:         0
        .size:           8
        .value_kind:     global_buffer
      - .address_space:  global
        .offset:         8
        .size:           8
        .value_kind:     global_buffer
      - .address_space:  global
        .offset:         16
        .size:           8
        .value_kind:     global_buffer
      - .address_space:  global
        .offset:         24
        .size:           8
        .value_kind:     global_buffer
      - .address_space:  global
        .offset:         32
        .size:           8
        .value_kind:     global_buffer
      - .address_space:  global
        .offset:         40
        .size:           8
        .value_kind:     global_buffer
      - .offset:         48
        .size:           8
        .value_kind:     by_value
      - .offset:         56
        .size:           8
        .value_kind:     by_value
      - .offset:         64
        .size:           8
        .value_kind:     by_value
      - .offset:         72
        .size:           8
        .value_kind:     by_value
      - .offset:         80
        .size:           8
        .value_kind:     by_value
      - .offset:         88
        .size:           8
        .value_kind:     by_value
      - .offset:         96
        .size:           8
        .value_kind:     by_value
      - .offset:         104
        .size:           8
        .value_kind:     by_value
      - .offset:         112
        .size:           4
        .value_kind:     hidden_block_count_x
      - .offset:         116
        .size:           4
        .value_kind:     hidden_block_count_y
      - .offset:         120
        .size:           4
        .value_kind:     hidden_block_count_z
      - .offset:         124
        .size:           2
        .value_kind:     hidden_group_size_x
      - .offset:         126
        .size:           2
        .value_kind:     hidden_group_size_y
      - .offset:         128
        .size:           2
        .value_kind:     hidden_group_size_z
      - .offset:         130
        .size:           2
        .value_kind:     hidden_remainder_x
      - .offset:         132
        .size:           2
        .value_kind:     hidden_remainder_y
      - .offset:         134
        .size:           2
        .value_kind:     hidden_remainder_z
      - .offset:         152
        .size:           8
        .value_kind:     hidden_global_offset_x
      - .offset:         160
        .size:           8
        .value_kind:     hidden_global_offset_y
      - .offset:         168
        .size:           8
        .value_kind:     hidden_global_offset_z
      - .offset:         176
        .size:           2
        .value_kind:     hidden_grid_dims
    .group_segment_fixed_size: 0
    .kernarg_segment_align: 8
    .kernarg_segment_size: 368
    .language:       OpenCL C
    .language_version:
      - 2
      - 0
    .max_flat_workgroup_size: 1024
    .name:           _Z9allenCahnPA400_A400_dS1_S1_S1_S1_S1_dddddddd
    .private_segment_fixed_size: 0
    .sgpr_count:     32
    .sgpr_spill_count: 0
    .symbol:         _Z9allenCahnPA400_A400_dS1_S1_S1_S1_S1_dddddddd.kd
    .uniform_work_group_size: 1
    .uses_dynamic_stack: false
    .vgpr_count:     46
    .vgpr_spill_count: 0
    .wavefront_size: 64
  - .args:
      - .address_space:  global
        .offset:         0
        .size:           8
        .value_kind:     global_buffer
      - .offset:         8
        .size:           4
        .value_kind:     hidden_block_count_x
      - .offset:         12
        .size:           4
        .value_kind:     hidden_block_count_y
      - .offset:         16
        .size:           4
        .value_kind:     hidden_block_count_z
      - .offset:         20
        .size:           2
        .value_kind:     hidden_group_size_x
      - .offset:         22
        .size:           2
        .value_kind:     hidden_group_size_y
      - .offset:         24
        .size:           2
        .value_kind:     hidden_group_size_z
      - .offset:         26
        .size:           2
        .value_kind:     hidden_remainder_x
      - .offset:         28
        .size:           2
        .value_kind:     hidden_remainder_y
      - .offset:         30
        .size:           2
        .value_kind:     hidden_remainder_z
      - .offset:         48
        .size:           8
        .value_kind:     hidden_global_offset_x
      - .offset:         56
        .size:           8
        .value_kind:     hidden_global_offset_y
      - .offset:         64
        .size:           8
        .value_kind:     hidden_global_offset_z
      - .offset:         72
        .size:           2
        .value_kind:     hidden_grid_dims
    .group_segment_fixed_size: 0
    .kernarg_segment_align: 8
    .kernarg_segment_size: 264
    .language:       OpenCL C
    .language_version:
      - 2
      - 0
    .max_flat_workgroup_size: 1024
    .name:           _Z21boundaryConditionsPhiPA400_A400_d
    .private_segment_fixed_size: 0
    .sgpr_count:     18
    .sgpr_spill_count: 0
    .symbol:         _Z21boundaryConditionsPhiPA400_A400_d.kd
    .uniform_work_group_size: 1
    .uses_dynamic_stack: false
    .vgpr_count:     6
    .vgpr_spill_count: 0
    .wavefront_size: 64
  - .args:
      - .address_space:  global
        .offset:         0
        .size:           8
        .value_kind:     global_buffer
      - .address_space:  global
        .offset:         8
        .size:           8
        .value_kind:     global_buffer
      - .address_space:  global
        .offset:         16
        .size:           8
        .value_kind:     global_buffer
      - .address_space:  global
        .offset:         24
        .size:           8
        .value_kind:     global_buffer
      - .offset:         32
        .size:           8
        .value_kind:     by_value
      - .offset:         40
        .size:           8
        .value_kind:     by_value
      - .offset:         48
        .size:           8
        .value_kind:     by_value
      - .offset:         56
        .size:           8
        .value_kind:     by_value
      - .offset:         64
        .size:           8
        .value_kind:     by_value
      - .offset:         72
        .size:           4
        .value_kind:     hidden_block_count_x
      - .offset:         76
        .size:           4
        .value_kind:     hidden_block_count_y
      - .offset:         80
        .size:           4
        .value_kind:     hidden_block_count_z
      - .offset:         84
        .size:           2
        .value_kind:     hidden_group_size_x
      - .offset:         86
        .size:           2
        .value_kind:     hidden_group_size_y
      - .offset:         88
        .size:           2
        .value_kind:     hidden_group_size_z
      - .offset:         90
        .size:           2
        .value_kind:     hidden_remainder_x
      - .offset:         92
        .size:           2
        .value_kind:     hidden_remainder_y
      - .offset:         94
        .size:           2
        .value_kind:     hidden_remainder_z
      - .offset:         112
        .size:           8
        .value_kind:     hidden_global_offset_x
      - .offset:         120
        .size:           8
        .value_kind:     hidden_global_offset_y
      - .offset:         128
        .size:           8
        .value_kind:     hidden_global_offset_z
      - .offset:         136
        .size:           2
        .value_kind:     hidden_grid_dims
    .group_segment_fixed_size: 0
    .kernarg_segment_align: 8
    .kernarg_segment_size: 328
    .language:       OpenCL C
    .language_version:
      - 2
      - 0
    .max_flat_workgroup_size: 1024
    .name:           _Z15thermalEquationPA400_A400_dS1_S1_S1_ddddd
    .private_segment_fixed_size: 0
    .sgpr_count:     28
    .sgpr_spill_count: 0
    .symbol:         _Z15thermalEquationPA400_A400_dS1_S1_S1_ddddd.kd
    .uniform_work_group_size: 1
    .uses_dynamic_stack: false
    .vgpr_count:     32
    .vgpr_spill_count: 0
    .wavefront_size: 64
  - .args:
      - .address_space:  global
        .offset:         0
        .size:           8
        .value_kind:     global_buffer
      - .offset:         8
        .size:           8
        .value_kind:     by_value
      - .offset:         16
        .size:           4
        .value_kind:     hidden_block_count_x
      - .offset:         20
        .size:           4
        .value_kind:     hidden_block_count_y
      - .offset:         24
        .size:           4
        .value_kind:     hidden_block_count_z
      - .offset:         28
        .size:           2
        .value_kind:     hidden_group_size_x
      - .offset:         30
        .size:           2
        .value_kind:     hidden_group_size_y
      - .offset:         32
        .size:           2
        .value_kind:     hidden_group_size_z
      - .offset:         34
        .size:           2
        .value_kind:     hidden_remainder_x
      - .offset:         36
        .size:           2
        .value_kind:     hidden_remainder_y
      - .offset:         38
        .size:           2
        .value_kind:     hidden_remainder_z
      - .offset:         56
        .size:           8
        .value_kind:     hidden_global_offset_x
      - .offset:         64
        .size:           8
        .value_kind:     hidden_global_offset_y
      - .offset:         72
        .size:           8
        .value_kind:     hidden_global_offset_z
      - .offset:         80
        .size:           2
        .value_kind:     hidden_grid_dims
    .group_segment_fixed_size: 0
    .kernarg_segment_align: 8
    .kernarg_segment_size: 272
    .language:       OpenCL C
    .language_version:
      - 2
      - 0
    .max_flat_workgroup_size: 1024
    .name:           _Z19boundaryConditionsUPA400_A400_dd
    .private_segment_fixed_size: 0
    .sgpr_count:     20
    .sgpr_spill_count: 0
    .symbol:         _Z19boundaryConditionsUPA400_A400_dd.kd
    .uniform_work_group_size: 1
    .uses_dynamic_stack: false
    .vgpr_count:     7
    .vgpr_spill_count: 0
    .wavefront_size: 64
  - .args:
      - .address_space:  global
        .offset:         0
        .size:           8
        .value_kind:     global_buffer
      - .address_space:  global
        .offset:         8
        .size:           8
        .value_kind:     global_buffer
      - .offset:         16
        .size:           4
        .value_kind:     hidden_block_count_x
      - .offset:         20
        .size:           4
        .value_kind:     hidden_block_count_y
      - .offset:         24
        .size:           4
        .value_kind:     hidden_block_count_z
      - .offset:         28
        .size:           2
        .value_kind:     hidden_group_size_x
      - .offset:         30
        .size:           2
        .value_kind:     hidden_group_size_y
      - .offset:         32
        .size:           2
        .value_kind:     hidden_group_size_z
      - .offset:         34
        .size:           2
        .value_kind:     hidden_remainder_x
      - .offset:         36
        .size:           2
        .value_kind:     hidden_remainder_y
      - .offset:         38
        .size:           2
        .value_kind:     hidden_remainder_z
      - .offset:         56
        .size:           8
        .value_kind:     hidden_global_offset_x
      - .offset:         64
        .size:           8
        .value_kind:     hidden_global_offset_y
      - .offset:         72
        .size:           8
        .value_kind:     hidden_global_offset_z
      - .offset:         80
        .size:           2
        .value_kind:     hidden_grid_dims
    .group_segment_fixed_size: 0
    .kernarg_segment_align: 8
    .kernarg_segment_size: 272
    .language:       OpenCL C
    .language_version:
      - 2
      - 0
    .max_flat_workgroup_size: 1024
    .name:           _Z8swapGridPA400_A400_dS1_
    .private_segment_fixed_size: 0
    .sgpr_count:     13
    .sgpr_spill_count: 0
    .symbol:         _Z8swapGridPA400_A400_dS1_.kd
    .uniform_work_group_size: 1
    .uses_dynamic_stack: false
    .vgpr_count:     8
    .vgpr_spill_count: 0
    .wavefront_size: 64
amdhsa.target:   amdgcn-amd-amdhsa--gfx906
amdhsa.version:
  - 1
  - 2
...

	.end_amdgpu_metadata
